;; amdgpu-corpus repo=ROCm/rocFFT kind=compiled arch=gfx1201 opt=O3
	.text
	.amdgcn_target "amdgcn-amd-amdhsa--gfx1201"
	.amdhsa_code_object_version 6
	.protected	bluestein_single_fwd_len640_dim1_dp_op_CI_CI ; -- Begin function bluestein_single_fwd_len640_dim1_dp_op_CI_CI
	.globl	bluestein_single_fwd_len640_dim1_dp_op_CI_CI
	.p2align	8
	.type	bluestein_single_fwd_len640_dim1_dp_op_CI_CI,@function
bluestein_single_fwd_len640_dim1_dp_op_CI_CI: ; @bluestein_single_fwd_len640_dim1_dp_op_CI_CI
; %bb.0:
	s_load_b128 s[12:15], s[0:1], 0x28
	v_lshrrev_b32_e32 v1, 6, v0
	v_mov_b32_e32 v122, 0
	s_mov_b32 s2, exec_lo
	s_delay_alu instid0(VALU_DEP_2) | instskip(NEXT) | instid1(VALU_DEP_2)
	v_lshl_or_b32 v191, ttmp9, 1, v1
	v_mov_b32_e32 v192, v122
	s_wait_kmcnt 0x0
	s_delay_alu instid0(VALU_DEP_1)
	v_cmpx_gt_u64_e64 s[12:13], v[191:192]
	s_cbranch_execz .LBB0_23
; %bb.1:
	s_clause 0x1
	s_load_b128 s[4:7], s[0:1], 0x18
	s_load_b64 s[12:13], s[0:1], 0x0
	v_and_b32_e32 v193, 63, v0
	v_and_b32_e32 v0, 64, v0
	s_wait_kmcnt 0x0
	s_load_b128 s[8:11], s[4:5], 0x0
	s_wait_kmcnt 0x0
	v_mad_co_u64_u32 v[1:2], null, s10, v191, 0
	v_mad_co_u64_u32 v[3:4], null, s8, v193, 0
	s_mul_u64 s[2:3], s[8:9], 0x50
	s_delay_alu instid0(VALU_DEP_1) | instskip(SKIP_1) | instid1(VALU_DEP_1)
	v_mad_co_u64_u32 v[5:6], null, s11, v191, v[2:3]
	s_load_b64 s[10:11], s[0:1], 0x38
	v_mov_b32_e32 v2, v5
	s_delay_alu instid0(VALU_DEP_3) | instskip(SKIP_2) | instid1(VALU_DEP_4)
	v_mad_co_u64_u32 v[6:7], null, s9, v193, v[4:5]
	v_or_b32_e32 v121, 64, v193
	v_lshlrev_b32_e32 v157, 4, v193
	v_lshlrev_b64_e32 v[1:2], 4, v[1:2]
	s_delay_alu instid0(VALU_DEP_4) | instskip(NEXT) | instid1(VALU_DEP_2)
	v_mov_b32_e32 v4, v6
	v_add_co_u32 v1, vcc_lo, s14, v1
	s_delay_alu instid0(VALU_DEP_3) | instskip(NEXT) | instid1(VALU_DEP_3)
	v_add_co_ci_u32_e32 v2, vcc_lo, s15, v2, vcc_lo
	v_lshlrev_b64_e32 v[3:4], 4, v[3:4]
	s_lshl_b64 s[14:15], s[2:3], 4
	v_add_co_u32 v189, s2, s12, v157
	s_delay_alu instid0(VALU_DEP_1) | instskip(NEXT) | instid1(VALU_DEP_3)
	v_add_co_ci_u32_e64 v190, null, s13, 0, s2
	v_add_co_u32 v25, vcc_lo, v1, v3
	s_wait_alu 0xfffd
	v_add_co_ci_u32_e32 v26, vcc_lo, v2, v4, vcc_lo
	s_clause 0x1
	global_load_b128 v[1:4], v157, s[12:13]
	global_load_b128 v[5:8], v157, s[12:13] offset:1280
	s_wait_alu 0xfffe
	v_add_co_u32 v27, vcc_lo, v25, s14
	s_wait_alu 0xfffd
	v_add_co_ci_u32_e32 v28, vcc_lo, s15, v26, vcc_lo
	s_clause 0x1
	global_load_b128 v[9:12], v157, s[12:13] offset:2560
	global_load_b128 v[13:16], v157, s[12:13] offset:3840
	v_add_co_u32 v29, vcc_lo, v27, s14
	s_wait_alu 0xfffd
	v_add_co_ci_u32_e32 v30, vcc_lo, s15, v28, vcc_lo
	s_clause 0x1
	global_load_b128 v[17:20], v157, s[12:13] offset:5120
	global_load_b128 v[21:24], v157, s[12:13] offset:6400
	v_add_co_u32 v31, vcc_lo, v29, s14
	s_wait_alu 0xfffd
	v_add_co_ci_u32_e32 v32, vcc_lo, s15, v30, vcc_lo
	global_load_b128 v[35:38], v[25:26], off
	v_add_co_u32 v33, vcc_lo, v31, s14
	s_wait_alu 0xfffd
	v_add_co_ci_u32_e32 v34, vcc_lo, s15, v32, vcc_lo
	s_clause 0x1
	global_load_b128 v[39:42], v[27:28], off
	global_load_b128 v[43:46], v[29:30], off
	v_add_co_u32 v25, vcc_lo, v33, s14
	s_wait_alu 0xfffd
	v_add_co_ci_u32_e32 v26, vcc_lo, s15, v34, vcc_lo
	s_clause 0x1
	global_load_b128 v[47:50], v[31:32], off
	global_load_b128 v[51:54], v[33:34], off
	v_add_co_u32 v27, vcc_lo, v25, s14
	s_wait_alu 0xfffd
	v_add_co_ci_u32_e32 v28, vcc_lo, s15, v26, vcc_lo
	s_delay_alu instid0(VALU_DEP_2) | instskip(SKIP_1) | instid1(VALU_DEP_2)
	v_add_co_u32 v33, vcc_lo, v27, s14
	s_wait_alu 0xfffd
	v_add_co_ci_u32_e32 v34, vcc_lo, s15, v28, vcc_lo
	global_load_b128 v[55:58], v[25:26], off
	global_load_b128 v[59:62], v[27:28], off
	s_clause 0x1
	global_load_b128 v[25:28], v157, s[12:13] offset:7680
	global_load_b128 v[29:32], v157, s[12:13] offset:8960
	global_load_b128 v[63:66], v[33:34], off
	v_cmp_ne_u32_e32 vcc_lo, 0, v0
	s_load_b128 s[4:7], s[6:7], 0x0
	v_cndmask_b32_e64 v194, 0, 0x280, vcc_lo
	v_cmp_gt_u64_e32 vcc_lo, 0x50, v[121:122]
	s_delay_alu instid0(VALU_DEP_2) | instskip(SKIP_1) | instid1(VALU_DEP_2)
	v_or_b32_e32 v0, v194, v193
	v_lshl_or_b32 v192, v194, 4, v157
	v_lshlrev_b32_e32 v0, 4, v0
	s_wait_loadcnt 0x9
	v_mul_f64_e32 v[67:68], v[37:38], v[3:4]
	v_mul_f64_e32 v[69:70], v[35:36], v[3:4]
	s_wait_loadcnt 0x8
	v_mul_f64_e32 v[71:72], v[41:42], v[7:8]
	v_mul_f64_e32 v[73:74], v[39:40], v[7:8]
	s_wait_loadcnt 0x7
	v_mul_f64_e32 v[75:76], v[45:46], v[11:12]
	v_mul_f64_e32 v[77:78], v[43:44], v[11:12]
	s_wait_loadcnt 0x6
	v_mul_f64_e32 v[79:80], v[49:50], v[15:16]
	v_mul_f64_e32 v[81:82], v[47:48], v[15:16]
	s_wait_loadcnt 0x5
	v_mul_f64_e32 v[83:84], v[53:54], v[19:20]
	v_mul_f64_e32 v[85:86], v[51:52], v[19:20]
	s_wait_loadcnt 0x4
	v_mul_f64_e32 v[87:88], v[57:58], v[23:24]
	v_mul_f64_e32 v[89:90], v[55:56], v[23:24]
	s_wait_loadcnt 0x2
	v_mul_f64_e32 v[91:92], v[61:62], v[27:28]
	v_mul_f64_e32 v[93:94], v[59:60], v[27:28]
	s_wait_loadcnt 0x0
	v_mul_f64_e32 v[95:96], v[65:66], v[31:32]
	v_mul_f64_e32 v[97:98], v[63:64], v[31:32]
	v_fma_f64 v[35:36], v[35:36], v[1:2], v[67:68]
	v_fma_f64 v[37:38], v[37:38], v[1:2], -v[69:70]
	v_fma_f64 v[39:40], v[39:40], v[5:6], v[71:72]
	v_fma_f64 v[41:42], v[41:42], v[5:6], -v[73:74]
	;; [unrolled: 2-line block ×3, first 2 shown]
	ds_store_b128 v0, v[35:38]
	ds_store_b128 v192, v[39:42] offset:1280
	ds_store_b128 v192, v[43:46] offset:2560
	v_fma_f64 v[47:48], v[47:48], v[13:14], v[79:80]
	v_fma_f64 v[49:50], v[49:50], v[13:14], -v[81:82]
	v_fma_f64 v[51:52], v[51:52], v[17:18], v[83:84]
	v_fma_f64 v[53:54], v[53:54], v[17:18], -v[85:86]
	;; [unrolled: 2-line block ×5, first 2 shown]
	ds_store_b128 v192, v[47:50] offset:3840
	ds_store_b128 v192, v[51:54] offset:5120
	;; [unrolled: 1-line block ×5, first 2 shown]
	s_and_saveexec_b32 s3, vcc_lo
	s_cbranch_execz .LBB0_3
; %bb.2:
	v_mad_co_u64_u32 v[57:58], null, 0xffffe100, s8, v[33:34]
	s_mul_i32 s2, s9, 0xffffe100
	s_clause 0x1
	global_load_b128 v[33:36], v[189:190], off offset:1024
	global_load_b128 v[37:40], v[189:190], off offset:2304
	s_wait_alu 0xfffe
	s_sub_co_i32 s2, s2, s8
	s_clause 0x3
	global_load_b128 v[41:44], v[189:190], off offset:3584
	global_load_b128 v[45:48], v[189:190], off offset:4864
	;; [unrolled: 1-line block ×4, first 2 shown]
	s_wait_alu 0xfffe
	v_add_nc_u32_e32 v58, s2, v58
	v_add_co_u32 v61, s2, v57, s14
	s_wait_alu 0xf1ff
	s_delay_alu instid0(VALU_DEP_2) | instskip(NEXT) | instid1(VALU_DEP_2)
	v_add_co_ci_u32_e64 v62, s2, s15, v58, s2
	v_add_co_u32 v65, s2, v61, s14
	global_load_b128 v[57:60], v[57:58], off
	s_wait_alu 0xf1ff
	v_add_co_ci_u32_e64 v66, s2, s15, v62, s2
	v_add_co_u32 v69, s2, v65, s14
	global_load_b128 v[61:64], v[61:62], off
	s_wait_alu 0xf1ff
	;; [unrolled: 4-line block ×5, first 2 shown]
	v_add_co_ci_u32_e64 v82, s2, s15, v78, s2
	v_add_co_u32 v93, s2, v81, s14
	s_wait_alu 0xf1ff
	s_delay_alu instid0(VALU_DEP_2)
	v_add_co_ci_u32_e64 v94, s2, s15, v82, s2
	global_load_b128 v[77:80], v[77:78], off
	global_load_b128 v[81:84], v[81:82], off
	s_clause 0x1
	global_load_b128 v[85:88], v[189:190], off offset:8704
	global_load_b128 v[89:92], v[189:190], off offset:9984
	global_load_b128 v[93:96], v[93:94], off
	s_wait_loadcnt 0x9
	v_mul_f64_e32 v[97:98], v[59:60], v[35:36]
	v_mul_f64_e32 v[35:36], v[57:58], v[35:36]
	s_wait_loadcnt 0x8
	v_mul_f64_e32 v[99:100], v[63:64], v[39:40]
	v_mul_f64_e32 v[39:40], v[61:62], v[39:40]
	;; [unrolled: 3-line block ×8, first 2 shown]
	v_fma_f64 v[55:56], v[57:58], v[33:34], v[97:98]
	v_fma_f64 v[57:58], v[59:60], v[33:34], -v[35:36]
	v_fma_f64 v[33:34], v[61:62], v[37:38], v[99:100]
	v_fma_f64 v[35:36], v[63:64], v[37:38], -v[39:40]
	;; [unrolled: 2-line block ×8, first 2 shown]
	ds_store_b128 v192, v[55:58] offset:1024
	ds_store_b128 v192, v[33:36] offset:2304
	;; [unrolled: 1-line block ×8, first 2 shown]
.LBB0_3:
	s_wait_alu 0xfffe
	s_or_b32 exec_lo, exec_lo, s3
	global_wb scope:SCOPE_SE
	s_wait_dscnt 0x0
	s_wait_kmcnt 0x0
	s_barrier_signal -1
	s_barrier_wait -1
	global_inv scope:SCOPE_SE
	ds_load_b128 v[45:48], v0
	ds_load_b128 v[37:40], v192 offset:1280
	ds_load_b128 v[49:52], v192 offset:2560
	;; [unrolled: 1-line block ×7, first 2 shown]
                                        ; implicit-def: $vgpr41_vgpr42
                                        ; implicit-def: $vgpr57_vgpr58
                                        ; implicit-def: $vgpr65_vgpr66
                                        ; implicit-def: $vgpr77_vgpr78
                                        ; implicit-def: $vgpr73_vgpr74
                                        ; implicit-def: $vgpr69_vgpr70
                                        ; implicit-def: $vgpr61_vgpr62
                                        ; implicit-def: $vgpr53_vgpr54
	s_and_saveexec_b32 s2, vcc_lo
	s_cbranch_execz .LBB0_5
; %bb.4:
	ds_load_b128 v[41:44], v192 offset:1024
	ds_load_b128 v[53:56], v192 offset:2304
	;; [unrolled: 1-line block ×8, first 2 shown]
.LBB0_5:
	s_wait_alu 0xfffe
	s_or_b32 exec_lo, exec_lo, s2
	s_wait_dscnt 0x3
	v_add_f64_e64 v[93:94], v[45:46], -v[93:94]
	v_add_f64_e64 v[95:96], v[47:48], -v[95:96]
	s_wait_dscnt 0x1
	v_add_f64_e64 v[89:90], v[49:50], -v[89:90]
	v_add_f64_e64 v[91:92], v[51:52], -v[91:92]
	;; [unrolled: 1-line block ×4, first 2 shown]
	s_wait_dscnt 0x0
	v_add_f64_e64 v[81:82], v[33:34], -v[81:82]
	v_add_f64_e64 v[83:84], v[35:36], -v[83:84]
	;; [unrolled: 1-line block ×10, first 2 shown]
	s_mov_b32 s2, 0x667f3bcd
	s_mov_b32 s3, 0xbfe6a09e
	;; [unrolled: 1-line block ×3, first 2 shown]
	s_wait_alu 0xfffe
	s_mov_b32 s8, s2
	s_load_b64 s[0:1], s[0:1], 0x8
	v_lshlrev_b32_e32 v196, 3, v121
	global_wb scope:SCOPE_SE
	s_wait_kmcnt 0x0
	s_barrier_signal -1
	s_barrier_wait -1
	global_inv scope:SCOPE_SE
	v_fma_f64 v[45:46], v[45:46], 2.0, -v[93:94]
	v_fma_f64 v[47:48], v[47:48], 2.0, -v[95:96]
	;; [unrolled: 1-line block ×8, first 2 shown]
	v_add_f64_e64 v[91:92], v[93:94], -v[91:92]
	v_add_f64_e32 v[89:90], v[95:96], v[89:90]
	v_add_f64_e64 v[83:84], v[85:86], -v[83:84]
	v_add_f64_e32 v[81:82], v[87:88], v[81:82]
	v_fma_f64 v[97:98], v[41:42], 2.0, -v[69:70]
	v_fma_f64 v[99:100], v[43:44], 2.0, -v[71:72]
	;; [unrolled: 1-line block ×8, first 2 shown]
	v_add_f64_e64 v[75:76], v[69:70], -v[75:76]
	v_add_f64_e32 v[73:74], v[73:74], v[71:72]
	v_add_f64_e64 v[61:62], v[65:66], -v[79:80]
	v_add_f64_e32 v[63:64], v[77:78], v[67:68]
	v_add_f64_e64 v[77:78], v[45:46], -v[49:50]
	v_add_f64_e64 v[79:80], v[47:48], -v[51:52]
	;; [unrolled: 1-line block ×4, first 2 shown]
	v_fma_f64 v[93:94], v[93:94], 2.0, -v[91:92]
	v_fma_f64 v[95:96], v[95:96], 2.0, -v[89:90]
	;; [unrolled: 1-line block ×4, first 2 shown]
	v_fma_f64 v[101:102], v[83:84], s[8:9], v[91:92]
	v_fma_f64 v[103:104], v[81:82], s[8:9], v[89:90]
	v_add_f64_e64 v[105:106], v[97:98], -v[41:42]
	v_add_f64_e64 v[107:108], v[99:100], -v[43:44]
	v_add_f64_e64 v[57:58], v[53:54], -v[57:58]
	v_add_f64_e64 v[59:60], v[55:56], -v[59:60]
	v_fma_f64 v[33:34], v[69:70], 2.0, -v[75:76]
	v_fma_f64 v[35:36], v[71:72], 2.0, -v[73:74]
	;; [unrolled: 1-line block ×4, first 2 shown]
	v_fma_f64 v[117:118], v[61:62], s[8:9], v[75:76]
	v_fma_f64 v[119:120], v[63:64], s[8:9], v[73:74]
	v_fma_f64 v[69:70], v[45:46], 2.0, -v[77:78]
	v_fma_f64 v[71:72], v[47:48], 2.0, -v[79:80]
	;; [unrolled: 1-line block ×4, first 2 shown]
	v_add_f64_e64 v[41:42], v[77:78], -v[51:52]
	v_add_f64_e32 v[43:44], v[79:80], v[49:50]
	v_fma_f64 v[113:114], v[85:86], s[2:3], v[93:94]
	v_fma_f64 v[115:116], v[87:88], s[2:3], v[95:96]
	;; [unrolled: 1-line block ×4, first 2 shown]
	v_fma_f64 v[37:38], v[97:98], 2.0, -v[105:106]
	v_fma_f64 v[39:40], v[99:100], 2.0, -v[107:108]
	;; [unrolled: 1-line block ×4, first 2 shown]
	v_add_f64_e64 v[133:134], v[105:106], -v[59:60]
	v_add_f64_e32 v[135:136], v[107:108], v[57:58]
	v_fma_f64 v[97:98], v[65:66], s[2:3], v[33:34]
	v_fma_f64 v[99:100], v[67:68], s[2:3], v[35:36]
	;; [unrolled: 1-line block ×4, first 2 shown]
	v_add_f64_e64 v[49:50], v[69:70], -v[109:110]
	v_add_f64_e64 v[51:52], v[71:72], -v[111:112]
	v_fma_f64 v[57:58], v[77:78], 2.0, -v[41:42]
	v_fma_f64 v[59:60], v[79:80], 2.0, -v[43:44]
	v_fma_f64 v[53:54], v[87:88], s[2:3], v[113:114]
	v_fma_f64 v[55:56], v[85:86], s[8:9], v[115:116]
	v_fma_f64 v[61:62], v[91:92], 2.0, -v[45:46]
	v_fma_f64 v[63:64], v[89:90], 2.0, -v[47:48]
	v_add_f64_e64 v[89:90], v[37:38], -v[81:82]
	v_add_f64_e64 v[91:92], v[39:40], -v[83:84]
	v_fma_f64 v[81:82], v[105:106], 2.0, -v[133:134]
	v_fma_f64 v[83:84], v[107:108], 2.0, -v[135:136]
	v_fma_f64 v[129:130], v[67:68], s[2:3], v[97:98]
	v_fma_f64 v[131:132], v[65:66], s[8:9], v[99:100]
	v_fma_f64 v[125:126], v[75:76], 2.0, -v[137:138]
	v_fma_f64 v[127:128], v[73:74], 2.0, -v[139:140]
	v_lshlrev_b32_e32 v73, 3, v193
	s_delay_alu instid0(VALU_DEP_1)
	v_add_lshl_u32 v195, v194, v73, 4
	v_fma_f64 v[65:66], v[69:70], 2.0, -v[49:50]
	v_fma_f64 v[67:68], v[71:72], 2.0, -v[51:52]
	;; [unrolled: 1-line block ×4, first 2 shown]
	ds_store_b128 v195, v[57:60] offset:32
	ds_store_b128 v195, v[61:64] offset:48
	;; [unrolled: 1-line block ×4, first 2 shown]
	ds_store_b128 v195, v[65:68]
	ds_store_b128 v195, v[69:72] offset:16
	ds_store_b128 v195, v[41:44] offset:96
	;; [unrolled: 1-line block ×3, first 2 shown]
	s_and_saveexec_b32 s2, vcc_lo
	s_cbranch_execz .LBB0_7
; %bb.6:
	v_fma_f64 v[39:40], v[39:40], 2.0, -v[91:92]
	v_fma_f64 v[37:38], v[37:38], 2.0, -v[89:90]
	;; [unrolled: 1-line block ×4, first 2 shown]
	v_add_lshl_u32 v41, v194, v196, 4
	ds_store_b128 v41, v[81:84] offset:32
	ds_store_b128 v41, v[125:128] offset:48
	;; [unrolled: 1-line block ×4, first 2 shown]
	ds_store_b128 v41, v[37:40]
	ds_store_b128 v41, v[33:36] offset:16
	ds_store_b128 v41, v[133:136] offset:96
	;; [unrolled: 1-line block ×3, first 2 shown]
.LBB0_7:
	s_wait_alu 0xfffe
	s_or_b32 exec_lo, exec_lo, s2
	v_and_b32_e32 v69, 7, v193
	global_wb scope:SCOPE_SE
	s_wait_dscnt 0x0
	s_barrier_signal -1
	s_barrier_wait -1
	global_inv scope:SCOPE_SE
	v_mad_co_u64_u32 v[37:38], null, 0x90, v69, s[0:1]
	s_mov_b32 s8, 0x134454ff
	s_mov_b32 s9, 0x3fee6f0e
	s_mov_b32 s3, 0xbfee6f0e
	s_wait_alu 0xfffe
	s_mov_b32 s2, s8
	s_mov_b32 s16, 0x4755a5e
	s_mov_b32 s17, 0x3fe2cf23
	s_clause 0x8
	global_load_b128 v[53:56], v[37:38], off offset:32
	global_load_b128 v[61:64], v[37:38], off offset:64
	;; [unrolled: 1-line block ×4, first 2 shown]
	global_load_b128 v[33:36], v[37:38], off
	global_load_b128 v[49:52], v[37:38], off offset:16
	global_load_b128 v[45:48], v[37:38], off offset:48
	;; [unrolled: 1-line block ×4, first 2 shown]
	ds_load_b128 v[70:73], v192 offset:3072
	ds_load_b128 v[74:77], v192 offset:5120
	;; [unrolled: 1-line block ×6, first 2 shown]
	s_mov_b32 s15, 0xbfe2cf23
	s_mov_b32 s14, s16
	;; [unrolled: 1-line block ×6, first 2 shown]
	s_wait_loadcnt_dscnt 0x805
	v_mul_f64_e32 v[105:106], v[70:71], v[55:56]
	s_wait_loadcnt_dscnt 0x704
	v_mul_f64_e32 v[107:108], v[76:77], v[63:64]
	v_mul_f64_e32 v[109:110], v[74:75], v[63:64]
	s_wait_loadcnt_dscnt 0x603
	v_mul_f64_e32 v[111:112], v[85:86], v[59:60]
	s_wait_loadcnt_dscnt 0x502
	v_mul_f64_e32 v[113:114], v[93:94], v[67:68]
	v_mul_f64_e32 v[117:118], v[87:88], v[59:60]
	;; [unrolled: 1-line block ×4, first 2 shown]
	s_wait_loadcnt_dscnt 0x401
	v_mul_f64_e32 v[119:120], v[99:100], v[35:36]
	v_mul_f64_e32 v[122:123], v[97:98], v[35:36]
	v_fma_f64 v[105:106], v[72:73], v[53:54], v[105:106]
	v_fma_f64 v[107:108], v[74:75], v[61:62], -v[107:108]
	v_fma_f64 v[109:110], v[76:77], v[61:62], v[109:110]
	v_fma_f64 v[111:112], v[87:88], v[57:58], v[111:112]
	;; [unrolled: 1-line block ×3, first 2 shown]
	v_fma_f64 v[113:114], v[85:86], v[57:58], -v[117:118]
	v_fma_f64 v[78:79], v[70:71], v[53:54], -v[78:79]
	;; [unrolled: 1-line block ×3, first 2 shown]
	ds_load_b128 v[70:73], v192 offset:4096
	ds_load_b128 v[74:77], v192 offset:6144
	ds_load_b128 v[85:88], v192 offset:8192
	s_wait_loadcnt_dscnt 0x303
	v_mul_f64_e32 v[115:116], v[103:104], v[51:52]
	v_mul_f64_e32 v[117:118], v[101:102], v[51:52]
	v_fma_f64 v[97:98], v[97:98], v[33:34], -v[119:120]
	v_fma_f64 v[99:100], v[99:100], v[33:34], v[122:123]
	s_wait_loadcnt_dscnt 0x202
	v_mul_f64_e32 v[141:142], v[72:73], v[47:48]
	v_mul_f64_e32 v[143:144], v[70:71], v[47:48]
	s_wait_loadcnt_dscnt 0x101
	v_mul_f64_e32 v[145:146], v[76:77], v[43:44]
	s_wait_loadcnt_dscnt 0x0
	v_mul_f64_e32 v[147:148], v[87:88], v[39:40]
	v_mul_f64_e32 v[149:150], v[74:75], v[43:44]
	;; [unrolled: 1-line block ×3, first 2 shown]
	v_add_f64_e64 v[170:171], v[105:106], -v[109:110]
	v_add_f64_e32 v[119:120], v[109:110], v[111:112]
	v_add_f64_e32 v[122:123], v[105:106], v[95:96]
	;; [unrolled: 1-line block ×3, first 2 shown]
	v_add_f64_e64 v[162:163], v[78:79], -v[107:108]
	v_add_f64_e32 v[153:154], v[78:79], v[93:94]
	v_add_f64_e64 v[164:165], v[93:94], -v[113:114]
	v_fma_f64 v[101:102], v[101:102], v[49:50], -v[115:116]
	v_fma_f64 v[103:104], v[103:104], v[49:50], v[117:118]
	v_add_f64_e64 v[166:167], v[107:108], -v[78:79]
	v_add_f64_e64 v[168:169], v[113:114], -v[93:94]
	v_add_f64_e64 v[172:173], v[95:96], -v[111:112]
	v_add_f64_e64 v[174:175], v[109:110], -v[105:106]
	v_add_f64_e64 v[176:177], v[111:112], -v[95:96]
	v_fma_f64 v[115:116], v[70:71], v[45:46], -v[141:142]
	v_fma_f64 v[117:118], v[72:73], v[45:46], v[143:144]
	v_fma_f64 v[74:75], v[74:75], v[41:42], -v[145:146]
	v_fma_f64 v[85:86], v[85:86], v[37:38], -v[147:148]
	v_fma_f64 v[76:77], v[76:77], v[41:42], v[149:150]
	v_fma_f64 v[87:88], v[87:88], v[37:38], v[151:152]
	v_add_f64_e64 v[141:142], v[105:106], -v[95:96]
	v_add_f64_e64 v[145:146], v[78:79], -v[93:94]
	;; [unrolled: 1-line block ×4, first 2 shown]
	ds_load_b128 v[70:73], v0
	v_add_f64_e32 v[78:79], v[97:98], v[78:79]
	global_wb scope:SCOPE_SE
	s_wait_dscnt 0x0
	s_barrier_signal -1
	s_barrier_wait -1
	v_fma_f64 v[119:120], v[119:120], -0.5, v[99:100]
	v_fma_f64 v[122:123], v[122:123], -0.5, v[99:100]
	;; [unrolled: 1-line block ×3, first 2 shown]
	global_inv scope:SCOPE_SE
	v_fma_f64 v[149:150], v[153:154], -0.5, v[97:98]
	v_add_f64_e32 v[97:98], v[99:100], v[105:106]
	v_add_f64_e32 v[186:187], v[70:71], v[101:102]
	;; [unrolled: 1-line block ×7, first 2 shown]
	v_add_f64_e64 v[197:198], v[103:104], -v[87:88]
	v_add_f64_e64 v[203:204], v[101:102], -v[85:86]
	;; [unrolled: 1-line block ×4, first 2 shown]
	v_add_f64_e32 v[78:79], v[78:79], v[107:108]
	s_wait_alu 0xfffe
	v_fma_f64 v[178:179], v[145:146], s[2:3], v[119:120]
	v_fma_f64 v[180:181], v[147:148], s[8:9], v[122:123]
	;; [unrolled: 1-line block ×8, first 2 shown]
	v_add_f64_e32 v[97:98], v[97:98], v[109:110]
	v_fma_f64 v[99:100], v[153:154], -0.5, v[70:71]
	v_fma_f64 v[70:71], v[155:156], -0.5, v[70:71]
	;; [unrolled: 1-line block ×4, first 2 shown]
	v_add_f64_e32 v[153:154], v[162:163], v[164:165]
	v_add_f64_e32 v[155:156], v[166:167], v[168:169]
	;; [unrolled: 1-line block ×4, first 2 shown]
	v_add_f64_e64 v[170:171], v[87:88], -v[76:77]
	v_add_f64_e64 v[172:173], v[76:77], -v[87:88]
	v_add_f64_e32 v[78:79], v[78:79], v[113:114]
	v_fma_f64 v[162:163], v[147:148], s[14:15], v[178:179]
	v_fma_f64 v[164:165], v[145:146], s[14:15], v[180:181]
	;; [unrolled: 1-line block ×8, first 2 shown]
	v_add_f64_e64 v[145:146], v[101:102], -v[115:116]
	v_add_f64_e64 v[101:102], v[115:116], -v[101:102]
	;; [unrolled: 1-line block ×4, first 2 shown]
	v_add_f64_e32 v[115:116], v[186:187], v[115:116]
	v_add_f64_e32 v[117:118], v[201:202], v[117:118]
	v_add_f64_e64 v[147:148], v[85:86], -v[74:75]
	v_add_f64_e64 v[149:150], v[74:75], -v[85:86]
	v_add_f64_e32 v[97:98], v[97:98], v[111:112]
	v_fma_f64 v[107:108], v[197:198], s[8:9], v[99:100]
	v_fma_f64 v[109:110], v[199:200], s[2:3], v[70:71]
	;; [unrolled: 1-line block ×16, first 2 shown]
	v_add_f64_e32 v[103:104], v[103:104], v[172:173]
	v_add_f64_e32 v[74:75], v[115:116], v[74:75]
	;; [unrolled: 1-line block ×6, first 2 shown]
	v_fma_f64 v[107:108], v[199:200], s[16:17], v[107:108]
	v_fma_f64 v[109:110], v[197:198], s[16:17], v[109:110]
	v_fma_f64 v[111:112], v[205:206], s[14:15], v[174:175]
	v_fma_f64 v[113:114], v[203:204], s[14:15], v[176:177]
	v_fma_f64 v[72:73], v[203:204], s[16:17], v[72:73]
	v_fma_f64 v[70:71], v[197:198], s[14:15], v[70:71]
	v_fma_f64 v[99:100], v[199:200], s[14:15], v[99:100]
	v_fma_f64 v[105:106], v[205:206], s[16:17], v[105:106]
	v_mul_f64_e32 v[115:116], s[16:17], v[162:163]
	v_mul_f64_e32 v[117:118], s[8:9], v[164:165]
	;; [unrolled: 1-line block ×8, first 2 shown]
	v_add_f64_e32 v[74:75], v[74:75], v[85:86]
	v_add_f64_e32 v[87:88], v[76:77], v[87:88]
	;; [unrolled: 1-line block ×4, first 2 shown]
	v_fma_f64 v[170:171], v[145:146], s[18:19], v[107:108]
	v_fma_f64 v[172:173], v[101:102], s[18:19], v[109:110]
	;; [unrolled: 1-line block ×10, first 2 shown]
	v_fma_f64 v[117:118], v[119:120], s[16:17], -v[151:152]
	v_fma_f64 v[119:120], v[162:163], s[20:21], v[153:154]
	v_fma_f64 v[115:116], v[122:123], s[8:9], -v[149:150]
	v_fma_f64 v[122:123], v[164:165], s[18:19], v[155:156]
	v_fma_f64 v[143:144], v[166:167], s[2:3], -v[158:159]
	v_fma_f64 v[149:150], v[168:169], s[14:15], -v[160:161]
	v_add_f64_e32 v[77:78], v[74:75], v[85:86]
	v_add_f64_e32 v[79:80], v[87:88], v[93:94]
	v_add_f64_e64 v[87:88], v[87:88], -v[93:94]
	v_add_f64_e64 v[85:86], v[74:75], -v[85:86]
	v_add_f64_e32 v[93:94], v[170:171], v[72:73]
	v_add_f64_e32 v[97:98], v[172:173], v[113:114]
	;; [unrolled: 1-line block ×8, first 2 shown]
	v_add_f64_e64 v[109:110], v[170:171], -v[72:73]
	v_add_f64_e64 v[111:112], v[111:112], -v[119:120]
	;; [unrolled: 1-line block ×8, first 2 shown]
	v_lshrrev_b32_e32 v70, 3, v193
	s_delay_alu instid0(VALU_DEP_1) | instskip(NEXT) | instid1(VALU_DEP_1)
	v_mul_u32_u24_e32 v70, 0x50, v70
	v_or_b32_e32 v69, v70, v69
	s_delay_alu instid0(VALU_DEP_1)
	v_add_lshl_u32 v197, v194, v69, 4
	ds_store_b128 v197, v[77:80]
	ds_store_b128 v197, v[93:96] offset:128
	ds_store_b128 v197, v[97:100] offset:256
	;; [unrolled: 1-line block ×9, first 2 shown]
	global_wb scope:SCOPE_SE
	s_wait_dscnt 0x0
	s_barrier_signal -1
	s_barrier_wait -1
	global_inv scope:SCOPE_SE
	ds_load_b128 v[145:148], v0
	ds_load_b128 v[109:112], v192 offset:1280
	ds_load_b128 v[105:108], v192 offset:2560
	;; [unrolled: 1-line block ×7, first 2 shown]
	s_and_saveexec_b32 s2, vcc_lo
	s_cbranch_execz .LBB0_9
; %bb.8:
	ds_load_b128 v[141:144], v192 offset:1024
	ds_load_b128 v[73:76], v192 offset:2304
	;; [unrolled: 1-line block ×8, first 2 shown]
.LBB0_9:
	s_wait_alu 0xfffe
	s_or_b32 exec_lo, exec_lo, s2
	v_mad_co_u64_u32 v[122:123], null, 0x70, v193, s[0:1]
	s_mov_b32 s3, 0x3fe6a09e
	s_clause 0x1
	global_load_b128 v[97:100], v[122:123], off offset:1152
	global_load_b128 v[101:104], v[122:123], off offset:1168
	s_wait_loadcnt_dscnt 0x106
	v_mul_f64_e32 v[117:118], v[111:112], v[99:100]
	s_delay_alu instid0(VALU_DEP_1) | instskip(SKIP_1) | instid1(VALU_DEP_1)
	v_fma_f64 v[149:150], v[109:110], v[97:98], -v[117:118]
	v_mul_f64_e32 v[109:110], v[109:110], v[99:100]
	v_fma_f64 v[151:152], v[111:112], v[97:98], v[109:110]
	s_wait_loadcnt_dscnt 0x5
	v_mul_f64_e32 v[109:110], v[107:108], v[103:104]
	s_delay_alu instid0(VALU_DEP_1) | instskip(SKIP_1) | instid1(VALU_DEP_1)
	v_fma_f64 v[153:154], v[105:106], v[101:102], -v[109:110]
	v_mul_f64_e32 v[105:106], v[105:106], v[103:104]
	v_fma_f64 v[155:156], v[107:108], v[101:102], v[105:106]
	s_clause 0x1
	global_load_b128 v[105:108], v[122:123], off offset:1184
	global_load_b128 v[109:112], v[122:123], off offset:1200
	s_wait_loadcnt_dscnt 0x104
	v_mul_f64_e32 v[117:118], v[115:116], v[107:108]
	s_delay_alu instid0(VALU_DEP_1) | instskip(SKIP_1) | instid1(VALU_DEP_1)
	v_fma_f64 v[158:159], v[113:114], v[105:106], -v[117:118]
	v_mul_f64_e32 v[113:114], v[113:114], v[107:108]
	v_fma_f64 v[160:161], v[115:116], v[105:106], v[113:114]
	s_wait_loadcnt_dscnt 0x3
	v_mul_f64_e32 v[113:114], v[95:96], v[111:112]
	s_delay_alu instid0(VALU_DEP_1) | instskip(SKIP_4) | instid1(VALU_DEP_1)
	v_fma_f64 v[162:163], v[93:94], v[109:110], -v[113:114]
	s_clause 0x1
	global_load_b128 v[113:116], v[122:123], off offset:1232
	global_load_b128 v[117:120], v[122:123], off offset:1216
	v_mul_f64_e32 v[93:94], v[93:94], v[111:112]
	v_fma_f64 v[164:165], v[95:96], v[109:110], v[93:94]
	s_wait_loadcnt_dscnt 0x101
	v_mul_f64_e32 v[93:94], v[87:88], v[115:116]
	s_delay_alu instid0(VALU_DEP_1) | instskip(SKIP_1) | instid1(VALU_DEP_1)
	v_fma_f64 v[166:167], v[85:86], v[113:114], -v[93:94]
	v_mul_f64_e32 v[85:86], v[85:86], v[115:116]
	v_fma_f64 v[168:169], v[87:88], v[113:114], v[85:86]
	s_wait_loadcnt 0x0
	v_mul_f64_e32 v[85:86], v[71:72], v[119:120]
	s_delay_alu instid0(VALU_DEP_1) | instskip(SKIP_1) | instid1(VALU_DEP_1)
	v_fma_f64 v[170:171], v[69:70], v[117:118], -v[85:86]
	v_mul_f64_e32 v[69:70], v[69:70], v[119:120]
	v_fma_f64 v[172:173], v[71:72], v[117:118], v[69:70]
	v_add_nc_u32_e32 v69, -16, v193
	s_delay_alu instid0(VALU_DEP_1) | instskip(NEXT) | instid1(VALU_DEP_1)
	v_cndmask_b32_e32 v69, v69, v121, vcc_lo
	v_mul_i32_i24_e32 v70, 0x70, v69
	v_mul_hi_i32_i24_e32 v69, 0x70, v69
	s_delay_alu instid0(VALU_DEP_2) | instskip(SKIP_1) | instid1(VALU_DEP_2)
	v_add_co_u32 v93, s0, s0, v70
	s_wait_alu 0xf1ff
	v_add_co_ci_u32_e64 v94, s0, s1, v69, s0
	s_clause 0x1
	global_load_b128 v[121:124], v[122:123], off offset:1248
	global_load_b128 v[69:72], v[93:94], off offset:1152
	s_mov_b32 s0, 0x667f3bcd
	s_mov_b32 s1, 0xbfe6a09e
	s_wait_alu 0xfffe
	s_mov_b32 s2, s0
	s_wait_loadcnt_dscnt 0x100
	v_mul_f64_e32 v[85:86], v[79:80], v[123:124]
	s_delay_alu instid0(VALU_DEP_1) | instskip(SKIP_1) | instid1(VALU_DEP_1)
	v_fma_f64 v[174:175], v[77:78], v[121:122], -v[85:86]
	v_mul_f64_e32 v[77:78], v[77:78], v[123:124]
	v_fma_f64 v[176:177], v[79:80], v[121:122], v[77:78]
	s_wait_loadcnt 0x0
	v_mul_f64_e32 v[77:78], v[75:76], v[71:72]
	s_delay_alu instid0(VALU_DEP_1) | instskip(SKIP_1) | instid1(VALU_DEP_1)
	v_fma_f64 v[178:179], v[73:74], v[69:70], -v[77:78]
	v_mul_f64_e32 v[73:74], v[73:74], v[71:72]
	v_fma_f64 v[180:181], v[75:76], v[69:70], v[73:74]
	s_clause 0x1
	global_load_b128 v[73:76], v[93:94], off offset:1168
	global_load_b128 v[77:80], v[93:94], off offset:1184
	s_wait_loadcnt 0x1
	v_mul_f64_e32 v[85:86], v[83:84], v[75:76]
	s_delay_alu instid0(VALU_DEP_1) | instskip(SKIP_1) | instid1(VALU_DEP_1)
	v_fma_f64 v[182:183], v[81:82], v[73:74], -v[85:86]
	v_mul_f64_e32 v[81:82], v[81:82], v[75:76]
	v_fma_f64 v[184:185], v[83:84], v[73:74], v[81:82]
	s_clause 0x1
	global_load_b128 v[81:84], v[93:94], off offset:1200
	global_load_b128 v[85:88], v[93:94], off offset:1216
	s_wait_loadcnt 0x1
	v_mul_f64_e32 v[95:96], v[91:92], v[83:84]
	s_delay_alu instid0(VALU_DEP_1) | instskip(SKIP_1) | instid1(VALU_DEP_2)
	v_fma_f64 v[186:187], v[89:90], v[81:82], -v[95:96]
	v_mul_f64_e32 v[89:90], v[89:90], v[83:84]
	v_add_f64_e64 v[186:187], v[141:142], -v[186:187]
	s_delay_alu instid0(VALU_DEP_2) | instskip(SKIP_4) | instid1(VALU_DEP_1)
	v_fma_f64 v[198:199], v[91:92], v[81:82], v[89:90]
	s_clause 0x1
	global_load_b128 v[89:92], v[93:94], off offset:1232
	global_load_b128 v[93:96], v[93:94], off offset:1248
	v_add_f64_e64 v[198:199], v[143:144], -v[198:199]
	v_fma_f64 v[216:217], v[143:144], 2.0, -v[198:199]
	s_wait_loadcnt 0x1
	v_mul_f64_e32 v[200:201], v[135:136], v[91:92]
	s_delay_alu instid0(VALU_DEP_1) | instskip(SKIP_1) | instid1(VALU_DEP_2)
	v_fma_f64 v[200:201], v[133:134], v[89:90], -v[200:201]
	v_mul_f64_e32 v[133:134], v[133:134], v[91:92]
	v_add_f64_e64 v[200:201], v[182:183], -v[200:201]
	s_delay_alu instid0(VALU_DEP_2) | instskip(SKIP_1) | instid1(VALU_DEP_3)
	v_fma_f64 v[202:203], v[135:136], v[89:90], v[133:134]
	v_mul_f64_e32 v[133:134], v[131:132], v[87:88]
	v_add_f64_e32 v[226:227], v[198:199], v[200:201]
	s_delay_alu instid0(VALU_DEP_3) | instskip(NEXT) | instid1(VALU_DEP_3)
	v_add_f64_e64 v[202:203], v[184:185], -v[202:203]
	v_fma_f64 v[204:205], v[129:130], v[85:86], -v[133:134]
	v_mul_f64_e32 v[129:130], v[129:130], v[87:88]
	s_delay_alu instid0(VALU_DEP_4) | instskip(NEXT) | instid1(VALU_DEP_4)
	v_fma_f64 v[198:199], v[198:199], 2.0, -v[226:227]
	v_add_f64_e64 v[224:225], v[186:187], -v[202:203]
	s_delay_alu instid0(VALU_DEP_4) | instskip(NEXT) | instid1(VALU_DEP_4)
	v_add_f64_e64 v[204:205], v[178:179], -v[204:205]
	v_fma_f64 v[129:130], v[131:132], v[85:86], v[129:130]
	v_mul_f64_e32 v[131:132], v[127:128], v[79:80]
	s_delay_alu instid0(VALU_DEP_2) | instskip(NEXT) | instid1(VALU_DEP_2)
	v_add_f64_e64 v[218:219], v[180:181], -v[129:130]
	v_fma_f64 v[206:207], v[125:126], v[77:78], -v[131:132]
	v_mul_f64_e32 v[125:126], v[125:126], v[79:80]
	v_add_f64_e64 v[131:132], v[145:146], -v[162:163]
	v_add_f64_e64 v[162:163], v[153:154], -v[166:167]
	;; [unrolled: 1-line block ×4, first 2 shown]
	v_fma_f64 v[208:209], v[127:128], v[77:78], v[125:126]
	s_wait_loadcnt 0x0
	v_mul_f64_e32 v[125:126], v[139:140], v[95:96]
	v_mul_f64_e32 v[127:128], v[137:138], v[95:96]
	v_fma_f64 v[145:146], v[145:146], 2.0, -v[131:132]
	v_fma_f64 v[149:150], v[149:150], 2.0, -v[166:167]
	s_delay_alu instid0(VALU_DEP_4)
	v_fma_f64 v[125:126], v[137:138], v[93:94], -v[125:126]
	v_add_f64_e64 v[137:138], v[147:148], -v[164:165]
	v_add_f64_e64 v[164:165], v[155:156], -v[168:169]
	;; [unrolled: 1-line block ×4, first 2 shown]
	v_fma_f64 v[127:128], v[139:140], v[93:94], v[127:128]
	v_add_f64_e64 v[139:140], v[166:167], -v[170:171]
	v_add_f64_e64 v[222:223], v[206:207], -v[125:126]
	v_add_f64_e32 v[176:177], v[137:138], v[162:163]
	v_add_f64_e64 v[174:175], v[131:132], -v[164:165]
	v_fma_f64 v[147:148], v[147:148], 2.0, -v[137:138]
	v_add_f64_e32 v[210:211], v[168:169], v[172:173]
	v_add_f64_e64 v[220:221], v[208:209], -v[127:128]
	v_fma_f64 v[151:152], v[151:152], 2.0, -v[168:169]
	v_add_f64_e32 v[127:128], v[218:219], v[222:223]
	v_fma_f64 v[214:215], v[137:138], 2.0, -v[176:177]
	s_wait_alu 0xfffe
	v_fma_f64 v[133:134], v[139:140], s[2:3], v[174:175]
	v_fma_f64 v[212:213], v[131:132], 2.0, -v[174:175]
	v_fma_f64 v[135:136], v[210:211], s[2:3], v[176:177]
	v_fma_f64 v[131:132], v[166:167], 2.0, -v[139:140]
	v_fma_f64 v[137:138], v[168:169], 2.0, -v[210:211]
	v_add_f64_e64 v[125:126], v[204:205], -v[220:221]
	v_fma_f64 v[133:134], v[210:211], s[0:1], v[133:134]
	v_fma_f64 v[135:136], v[139:140], s[2:3], v[135:136]
	;; [unrolled: 1-line block ×5, first 2 shown]
	s_delay_alu instid0(VALU_DEP_3) | instskip(NEXT) | instid1(VALU_DEP_3)
	v_fma_f64 v[137:138], v[137:138], s[0:1], v[139:140]
	v_fma_f64 v[139:140], v[131:132], s[2:3], v[210:211]
	;; [unrolled: 1-line block ×3, first 2 shown]
	v_fma_f64 v[210:211], v[141:142], 2.0, -v[186:187]
	v_fma_f64 v[186:187], v[186:187], 2.0, -v[224:225]
	;; [unrolled: 1-line block ×3, first 2 shown]
	v_fma_f64 v[129:130], v[127:128], s[0:1], v[129:130]
	v_fma_f64 v[131:132], v[125:126], s[2:3], v[131:132]
	v_fma_f64 v[125:126], v[218:219], 2.0, -v[127:128]
	s_delay_alu instid0(VALU_DEP_4) | instskip(NEXT) | instid1(VALU_DEP_2)
	v_fma_f64 v[127:128], v[141:142], s[0:1], v[186:187]
	v_fma_f64 v[143:144], v[125:126], s[0:1], v[198:199]
	s_delay_alu instid0(VALU_DEP_2) | instskip(NEXT) | instid1(VALU_DEP_2)
	v_fma_f64 v[125:126], v[125:126], s[0:1], v[127:128]
	v_fma_f64 v[127:128], v[141:142], s[2:3], v[143:144]
	v_fma_f64 v[141:142], v[153:154], 2.0, -v[162:163]
	v_fma_f64 v[143:144], v[155:156], 2.0, -v[164:165]
	;; [unrolled: 1-line block ×4, first 2 shown]
	s_delay_alu instid0(VALU_DEP_4) | instskip(NEXT) | instid1(VALU_DEP_4)
	v_add_f64_e64 v[158:159], v[145:146], -v[141:142]
	v_add_f64_e64 v[160:161], v[147:148], -v[143:144]
	s_delay_alu instid0(VALU_DEP_4) | instskip(NEXT) | instid1(VALU_DEP_4)
	v_add_f64_e64 v[153:154], v[149:150], -v[153:154]
	v_add_f64_e64 v[155:156], v[151:152], -v[155:156]
	s_delay_alu instid0(VALU_DEP_4) | instskip(NEXT) | instid1(VALU_DEP_4)
	v_fma_f64 v[145:146], v[145:146], 2.0, -v[158:159]
	v_fma_f64 v[147:148], v[147:148], 2.0, -v[160:161]
	s_delay_alu instid0(VALU_DEP_4) | instskip(NEXT) | instid1(VALU_DEP_4)
	v_fma_f64 v[141:142], v[149:150], 2.0, -v[153:154]
	v_fma_f64 v[143:144], v[151:152], 2.0, -v[155:156]
	v_fma_f64 v[149:150], v[212:213], 2.0, -v[137:138]
	v_fma_f64 v[151:152], v[214:215], 2.0, -v[139:140]
	s_delay_alu instid0(VALU_DEP_4) | instskip(NEXT) | instid1(VALU_DEP_4)
	v_add_f64_e64 v[141:142], v[145:146], -v[141:142]
	v_add_f64_e64 v[143:144], v[147:148], -v[143:144]
	s_delay_alu instid0(VALU_DEP_2) | instskip(NEXT) | instid1(VALU_DEP_2)
	v_fma_f64 v[145:146], v[145:146], 2.0, -v[141:142]
	v_fma_f64 v[147:148], v[147:148], 2.0, -v[143:144]
	ds_store_b128 v0, v[145:148]
	v_add_f64_e64 v[145:146], v[158:159], -v[155:156]
	v_add_f64_e32 v[147:148], v[160:161], v[153:154]
	s_delay_alu instid0(VALU_DEP_2) | instskip(NEXT) | instid1(VALU_DEP_2)
	v_fma_f64 v[153:154], v[158:159], 2.0, -v[145:146]
	v_fma_f64 v[155:156], v[160:161], 2.0, -v[147:148]
	ds_store_b128 v192, v[149:152] offset:1280
	ds_store_b128 v192, v[153:156] offset:2560
	v_fma_f64 v[149:150], v[174:175], 2.0, -v[133:134]
	v_fma_f64 v[151:152], v[176:177], 2.0, -v[135:136]
	ds_store_b128 v192, v[149:152] offset:3840
	ds_store_b128 v192, v[141:144] offset:5120
	;; [unrolled: 1-line block ×5, first 2 shown]
	v_fma_f64 v[133:134], v[178:179], 2.0, -v[204:205]
	v_fma_f64 v[135:136], v[180:181], 2.0, -v[218:219]
	;; [unrolled: 1-line block ×8, first 2 shown]
	v_add_f64_e64 v[137:138], v[133:134], -v[137:138]
	v_add_f64_e64 v[139:140], v[135:136], -v[139:140]
	;; [unrolled: 1-line block ×4, first 2 shown]
	s_delay_alu instid0(VALU_DEP_4) | instskip(NEXT) | instid1(VALU_DEP_4)
	v_fma_f64 v[133:134], v[133:134], 2.0, -v[137:138]
	v_fma_f64 v[135:136], v[135:136], 2.0, -v[139:140]
	s_delay_alu instid0(VALU_DEP_4) | instskip(NEXT) | instid1(VALU_DEP_4)
	v_add_f64_e64 v[153:154], v[141:142], -v[139:140]
	v_add_f64_e32 v[155:156], v[143:144], v[137:138]
	v_fma_f64 v[137:138], v[210:211], 2.0, -v[141:142]
	v_fma_f64 v[139:140], v[216:217], 2.0, -v[143:144]
	s_delay_alu instid0(VALU_DEP_4) | instskip(NEXT) | instid1(VALU_DEP_4)
	v_fma_f64 v[141:142], v[141:142], 2.0, -v[153:154]
	v_fma_f64 v[143:144], v[143:144], 2.0, -v[155:156]
	s_delay_alu instid0(VALU_DEP_4) | instskip(NEXT) | instid1(VALU_DEP_4)
	v_add_f64_e64 v[149:150], v[137:138], -v[133:134]
	v_add_f64_e64 v[151:152], v[139:140], -v[135:136]
	s_delay_alu instid0(VALU_DEP_2) | instskip(NEXT) | instid1(VALU_DEP_2)
	v_fma_f64 v[133:134], v[137:138], 2.0, -v[149:150]
	v_fma_f64 v[135:136], v[139:140], 2.0, -v[151:152]
	;; [unrolled: 1-line block ×4, first 2 shown]
	s_and_saveexec_b32 s0, vcc_lo
	s_cbranch_execz .LBB0_11
; %bb.10:
	ds_store_b128 v192, v[133:136] offset:1024
	ds_store_b128 v192, v[137:140] offset:2304
	;; [unrolled: 1-line block ×8, first 2 shown]
.LBB0_11:
	s_wait_alu 0xfffe
	s_or_b32 exec_lo, exec_lo, s0
	global_wb scope:SCOPE_SE
	s_wait_dscnt 0x0
	s_barrier_signal -1
	s_barrier_wait -1
	global_inv scope:SCOPE_SE
	global_load_b128 v[158:161], v[189:190], off offset:10240
	s_add_nc_u64 s[0:1], s[12:13], 0x2800
	s_clause 0x6
	global_load_b128 v[162:165], v157, s[0:1] offset:1280
	global_load_b128 v[166:169], v157, s[0:1] offset:2560
	global_load_b128 v[170:173], v157, s[0:1] offset:3840
	global_load_b128 v[174:177], v157, s[0:1] offset:5120
	global_load_b128 v[178:181], v157, s[0:1] offset:6400
	global_load_b128 v[182:185], v157, s[0:1] offset:7680
	global_load_b128 v[198:201], v157, s[0:1] offset:8960
	ds_load_b128 v[202:205], v0
	s_wait_loadcnt_dscnt 0x700
	v_mul_f64_e32 v[186:187], v[204:205], v[160:161]
	v_mul_f64_e32 v[160:161], v[202:203], v[160:161]
	s_delay_alu instid0(VALU_DEP_2) | instskip(NEXT) | instid1(VALU_DEP_2)
	v_fma_f64 v[202:203], v[202:203], v[158:159], -v[186:187]
	v_fma_f64 v[204:205], v[204:205], v[158:159], v[160:161]
	ds_store_b128 v0, v[202:205]
	ds_load_b128 v[158:161], v192 offset:1280
	ds_load_b128 v[202:205], v192 offset:2560
	;; [unrolled: 1-line block ×7, first 2 shown]
	s_wait_loadcnt_dscnt 0x606
	v_mul_f64_e32 v[186:187], v[160:161], v[164:165]
	v_mul_f64_e32 v[164:165], v[158:159], v[164:165]
	s_wait_loadcnt_dscnt 0x505
	v_mul_f64_e32 v[226:227], v[204:205], v[168:169]
	v_mul_f64_e32 v[168:169], v[202:203], v[168:169]
	;; [unrolled: 3-line block ×7, first 2 shown]
	v_fma_f64 v[158:159], v[158:159], v[162:163], -v[186:187]
	v_fma_f64 v[160:161], v[160:161], v[162:163], v[164:165]
	v_fma_f64 v[162:163], v[202:203], v[166:167], -v[226:227]
	v_fma_f64 v[164:165], v[204:205], v[166:167], v[168:169]
	;; [unrolled: 2-line block ×7, first 2 shown]
	ds_store_b128 v192, v[158:161] offset:1280
	ds_store_b128 v192, v[162:165] offset:2560
	;; [unrolled: 1-line block ×7, first 2 shown]
	s_and_saveexec_b32 s2, vcc_lo
	s_cbranch_execz .LBB0_13
; %bb.12:
	s_wait_alu 0xfffe
	v_add_co_u32 v185, s0, s0, v157
	s_wait_alu 0xf1ff
	v_add_co_ci_u32_e64 v186, null, s1, 0, s0
	s_clause 0x7
	global_load_b128 v[157:160], v[185:186], off offset:1024
	global_load_b128 v[161:164], v[185:186], off offset:2304
	;; [unrolled: 1-line block ×8, first 2 shown]
	ds_load_b128 v[198:201], v192 offset:1024
	ds_load_b128 v[202:205], v192 offset:2304
	;; [unrolled: 1-line block ×8, first 2 shown]
	s_wait_loadcnt_dscnt 0x707
	v_mul_f64_e32 v[230:231], v[200:201], v[159:160]
	v_mul_f64_e32 v[159:160], v[198:199], v[159:160]
	s_wait_loadcnt_dscnt 0x606
	v_mul_f64_e32 v[232:233], v[204:205], v[163:164]
	v_mul_f64_e32 v[163:164], v[202:203], v[163:164]
	;; [unrolled: 3-line block ×8, first 2 shown]
	v_fma_f64 v[198:199], v[198:199], v[157:158], -v[230:231]
	v_fma_f64 v[200:201], v[200:201], v[157:158], v[159:160]
	v_fma_f64 v[157:158], v[202:203], v[161:162], -v[232:233]
	v_fma_f64 v[159:160], v[204:205], v[161:162], v[163:164]
	v_fma_f64 v[161:162], v[206:207], v[165:166], -v[234:235]
	v_fma_f64 v[163:164], v[208:209], v[165:166], v[167:168]
	v_fma_f64 v[165:166], v[210:211], v[169:170], -v[236:237]
	v_fma_f64 v[167:168], v[212:213], v[169:170], v[171:172]
	v_fma_f64 v[169:170], v[214:215], v[173:174], -v[238:239]
	v_fma_f64 v[171:172], v[216:217], v[173:174], v[175:176]
	v_fma_f64 v[173:174], v[218:219], v[177:178], -v[240:241]
	v_fma_f64 v[175:176], v[220:221], v[177:178], v[179:180]
	v_fma_f64 v[177:178], v[222:223], v[181:182], -v[242:243]
	v_fma_f64 v[179:180], v[224:225], v[181:182], v[183:184]
	v_fma_f64 v[181:182], v[226:227], v[185:186], -v[244:245]
	v_fma_f64 v[183:184], v[228:229], v[185:186], v[187:188]
	ds_store_b128 v192, v[198:201] offset:1024
	ds_store_b128 v192, v[157:160] offset:2304
	;; [unrolled: 1-line block ×8, first 2 shown]
.LBB0_13:
	s_wait_alu 0xfffe
	s_or_b32 exec_lo, exec_lo, s2
	global_wb scope:SCOPE_SE
	s_wait_dscnt 0x0
	s_barrier_signal -1
	s_barrier_wait -1
	global_inv scope:SCOPE_SE
	ds_load_b128 v[165:168], v0
	ds_load_b128 v[161:164], v192 offset:1280
	ds_load_b128 v[169:172], v192 offset:2560
	;; [unrolled: 1-line block ×7, first 2 shown]
	s_and_saveexec_b32 s0, vcc_lo
	s_cbranch_execz .LBB0_15
; %bb.14:
	ds_load_b128 v[133:136], v192 offset:1024
	ds_load_b128 v[137:140], v192 offset:2304
	;; [unrolled: 1-line block ×8, first 2 shown]
.LBB0_15:
	s_wait_alu 0xfffe
	s_or_b32 exec_lo, exec_lo, s0
	s_wait_dscnt 0x3
	v_add_f64_e64 v[185:186], v[165:166], -v[185:186]
	v_add_f64_e64 v[187:188], v[167:168], -v[187:188]
	s_wait_dscnt 0x1
	v_add_f64_e64 v[181:182], v[169:170], -v[181:182]
	v_add_f64_e64 v[183:184], v[171:172], -v[183:184]
	;; [unrolled: 1-line block ×4, first 2 shown]
	s_wait_dscnt 0x0
	v_add_f64_e64 v[173:174], v[157:158], -v[173:174]
	v_add_f64_e64 v[175:176], v[159:160], -v[175:176]
	;; [unrolled: 1-line block ×10, first 2 shown]
	s_mov_b32 s0, 0x667f3bcd
	s_mov_b32 s1, 0xbfe6a09e
	s_wait_alu 0xfffe
	s_mov_b32 s2, s0
	global_wb scope:SCOPE_SE
	s_barrier_signal -1
	s_barrier_wait -1
	global_inv scope:SCOPE_SE
	v_fma_f64 v[165:166], v[165:166], 2.0, -v[185:186]
	v_fma_f64 v[167:168], v[167:168], 2.0, -v[187:188]
	;; [unrolled: 1-line block ×8, first 2 shown]
	v_add_f64_e32 v[183:184], v[185:186], v[183:184]
	v_add_f64_e64 v[181:182], v[187:188], -v[181:182]
	v_add_f64_e32 v[175:176], v[177:178], v[175:176]
	v_add_f64_e64 v[173:174], v[179:180], -v[173:174]
	v_fma_f64 v[133:134], v[133:134], 2.0, -v[149:150]
	v_fma_f64 v[135:136], v[135:136], 2.0, -v[151:152]
	;; [unrolled: 1-line block ×8, first 2 shown]
	v_add_f64_e32 v[198:199], v[155:156], v[149:150]
	v_add_f64_e64 v[200:201], v[151:152], -v[153:154]
	v_add_f64_e32 v[131:132], v[131:132], v[125:126]
	v_add_f64_e64 v[129:130], v[127:128], -v[129:130]
	v_add_f64_e64 v[202:203], v[165:166], -v[169:170]
	v_add_f64_e64 v[204:205], v[167:168], -v[171:172]
	v_add_f64_e64 v[153:154], v[161:162], -v[157:158]
	v_add_f64_e64 v[155:156], v[163:164], -v[159:160]
	v_fma_f64 v[185:186], v[185:186], 2.0, -v[183:184]
	v_fma_f64 v[187:188], v[187:188], 2.0, -v[181:182]
	;; [unrolled: 1-line block ×4, first 2 shown]
	s_wait_alu 0xfffe
	v_fma_f64 v[177:178], v[175:176], s[2:3], v[183:184]
	v_fma_f64 v[179:180], v[173:174], s[2:3], v[181:182]
	v_add_f64_e64 v[206:207], v[133:134], -v[141:142]
	v_add_f64_e64 v[208:209], v[135:136], -v[143:144]
	;; [unrolled: 1-line block ×4, first 2 shown]
	v_fma_f64 v[149:150], v[149:150], 2.0, -v[198:199]
	v_fma_f64 v[151:152], v[151:152], 2.0, -v[200:201]
	;; [unrolled: 1-line block ×4, first 2 shown]
	v_fma_f64 v[218:219], v[131:132], s[2:3], v[198:199]
	v_fma_f64 v[220:221], v[129:130], s[2:3], v[200:201]
	v_fma_f64 v[210:211], v[165:166], 2.0, -v[202:203]
	v_fma_f64 v[212:213], v[167:168], 2.0, -v[204:205]
	;; [unrolled: 1-line block ×4, first 2 shown]
	v_add_f64_e32 v[157:158], v[202:203], v[155:156]
	v_add_f64_e64 v[159:160], v[204:205], -v[153:154]
	v_fma_f64 v[214:215], v[171:172], s[0:1], v[185:186]
	v_fma_f64 v[216:217], v[169:170], s[0:1], v[187:188]
	;; [unrolled: 1-line block ×4, first 2 shown]
	v_fma_f64 v[153:154], v[133:134], 2.0, -v[206:207]
	v_fma_f64 v[155:156], v[135:136], 2.0, -v[208:209]
	;; [unrolled: 1-line block ×4, first 2 shown]
	v_add_f64_e32 v[137:138], v[206:207], v[143:144]
	v_add_f64_e64 v[139:140], v[208:209], -v[141:142]
	v_fma_f64 v[222:223], v[125:126], s[0:1], v[149:150]
	v_fma_f64 v[224:225], v[127:128], s[0:1], v[151:152]
	v_add_f64_e64 v[165:166], v[210:211], -v[145:146]
	v_add_f64_e64 v[167:168], v[212:213], -v[147:148]
	v_fma_f64 v[145:146], v[129:130], s[2:3], v[218:219]
	v_fma_f64 v[147:148], v[131:132], s[0:1], v[220:221]
	;; [unrolled: 1-line block ×4, first 2 shown]
	v_fma_f64 v[173:174], v[202:203], 2.0, -v[157:158]
	v_fma_f64 v[175:176], v[204:205], 2.0, -v[159:160]
	;; [unrolled: 1-line block ×4, first 2 shown]
	v_add_f64_e64 v[133:134], v[153:154], -v[133:134]
	v_add_f64_e64 v[135:136], v[155:156], -v[135:136]
	v_fma_f64 v[141:142], v[127:128], s[2:3], v[222:223]
	v_fma_f64 v[143:144], v[125:126], s[0:1], v[224:225]
	v_fma_f64 v[125:126], v[206:207], 2.0, -v[137:138]
	v_fma_f64 v[127:128], v[208:209], 2.0, -v[139:140]
	;; [unrolled: 1-line block ×8, first 2 shown]
	ds_store_b128 v195, v[173:176] offset:32
	ds_store_b128 v195, v[177:180] offset:48
	;; [unrolled: 1-line block ×4, first 2 shown]
	ds_store_b128 v195, v[181:184]
	ds_store_b128 v195, v[185:188] offset:16
	ds_store_b128 v195, v[157:160] offset:96
	;; [unrolled: 1-line block ×3, first 2 shown]
	s_and_saveexec_b32 s0, vcc_lo
	s_cbranch_execz .LBB0_17
; %bb.16:
	v_fma_f64 v[155:156], v[155:156], 2.0, -v[135:136]
	v_fma_f64 v[153:154], v[153:154], 2.0, -v[133:134]
	;; [unrolled: 1-line block ×4, first 2 shown]
	v_add_lshl_u32 v157, v194, v196, 4
	ds_store_b128 v157, v[125:128] offset:32
	ds_store_b128 v157, v[129:132] offset:48
	;; [unrolled: 1-line block ×4, first 2 shown]
	ds_store_b128 v157, v[153:156]
	ds_store_b128 v157, v[149:152] offset:16
	ds_store_b128 v157, v[137:140] offset:96
	;; [unrolled: 1-line block ×3, first 2 shown]
.LBB0_17:
	s_wait_alu 0xfffe
	s_or_b32 exec_lo, exec_lo, s0
	global_wb scope:SCOPE_SE
	s_wait_dscnt 0x0
	s_barrier_signal -1
	s_barrier_wait -1
	global_inv scope:SCOPE_SE
	ds_load_b128 v[149:152], v192 offset:3072
	ds_load_b128 v[153:156], v192 offset:5120
	;; [unrolled: 1-line block ×6, first 2 shown]
	s_mov_b32 s8, 0x134454ff
	s_mov_b32 s9, 0xbfee6f0e
	;; [unrolled: 1-line block ×3, first 2 shown]
	s_wait_alu 0xfffe
	s_mov_b32 s0, s8
	s_mov_b32 s14, 0x4755a5e
	;; [unrolled: 1-line block ×4, first 2 shown]
	s_wait_alu 0xfffe
	s_mov_b32 s2, s14
	s_mov_b32 s12, 0x372fe950
	;; [unrolled: 1-line block ×6, first 2 shown]
	s_wait_alu 0xfffe
	s_mov_b32 s18, s12
	s_mov_b32 s21, 0xbfe9e377
	s_wait_dscnt 0x5
	v_mul_f64_e32 v[173:174], v[55:56], v[149:150]
	s_wait_dscnt 0x4
	v_mul_f64_e32 v[175:176], v[63:64], v[153:154]
	;; [unrolled: 2-line block ×5, first 2 shown]
	v_mul_f64_e32 v[55:56], v[55:56], v[151:152]
	v_mul_f64_e32 v[63:64], v[63:64], v[155:156]
	v_mul_f64_e32 v[59:60], v[59:60], v[159:160]
	v_mul_f64_e32 v[67:68], v[67:68], v[163:164]
	s_wait_dscnt 0x0
	v_mul_f64_e32 v[187:188], v[51:52], v[171:172]
	v_mul_f64_e32 v[51:52], v[51:52], v[169:170]
	;; [unrolled: 1-line block ×3, first 2 shown]
	s_mov_b32 s20, s16
	v_fma_f64 v[151:152], v[53:54], v[151:152], -v[173:174]
	v_fma_f64 v[155:156], v[61:62], v[155:156], -v[175:176]
	v_fma_f64 v[159:160], v[57:58], v[159:160], -v[177:178]
	v_fma_f64 v[163:164], v[65:66], v[163:164], -v[179:180]
	ds_load_b128 v[173:176], v192 offset:4096
	ds_load_b128 v[177:180], v192 offset:6144
	;; [unrolled: 1-line block ×3, first 2 shown]
	v_fma_f64 v[53:54], v[53:54], v[149:150], v[55:56]
	v_fma_f64 v[55:56], v[61:62], v[153:154], v[63:64]
	;; [unrolled: 1-line block ×4, first 2 shown]
	v_fma_f64 v[61:62], v[33:34], v[167:168], -v[185:186]
	v_fma_f64 v[67:68], v[49:50], v[169:170], v[187:188]
	v_fma_f64 v[49:50], v[49:50], v[171:172], -v[51:52]
	s_wait_dscnt 0x2
	v_mul_f64_e32 v[194:195], v[47:48], v[175:176]
	v_mul_f64_e32 v[47:48], v[47:48], v[173:174]
	s_wait_dscnt 0x1
	v_mul_f64_e32 v[198:199], v[43:44], v[179:180]
	s_wait_dscnt 0x0
	v_mul_f64_e32 v[200:201], v[39:40], v[183:184]
	v_mul_f64_e32 v[43:44], v[43:44], v[177:178]
	;; [unrolled: 1-line block ×3, first 2 shown]
	v_add_f64_e32 v[63:64], v[155:156], v[159:160]
	v_add_f64_e32 v[65:66], v[151:152], v[163:164]
	v_add_f64_e64 v[204:205], v[53:54], -v[55:56]
	v_add_f64_e64 v[161:162], v[55:56], -v[57:58]
	v_add_f64_e32 v[153:154], v[53:54], v[59:60]
	v_add_f64_e64 v[157:158], v[53:54], -v[59:60]
	v_add_f64_e64 v[206:207], v[59:60], -v[57:58]
	;; [unrolled: 1-line block ×3, first 2 shown]
	v_fma_f64 v[51:52], v[45:46], v[173:174], v[194:195]
	v_fma_f64 v[45:46], v[45:46], v[175:176], -v[47:48]
	v_fma_f64 v[47:48], v[41:42], v[177:178], v[198:199]
	v_fma_f64 v[149:150], v[37:38], v[181:182], v[200:201]
	v_fma_f64 v[41:42], v[41:42], v[179:180], -v[43:44]
	v_fma_f64 v[37:38], v[37:38], v[183:184], -v[39:40]
	v_fma_f64 v[39:40], v[33:34], v[165:166], v[35:36]
	v_add_f64_e32 v[43:44], v[55:56], v[57:58]
	v_add_f64_e64 v[173:174], v[151:152], -v[163:164]
	v_add_f64_e64 v[175:176], v[151:152], -v[155:156]
	;; [unrolled: 1-line block ×6, first 2 shown]
	ds_load_b128 v[33:36], v0
	global_wb scope:SCOPE_SE
	s_wait_dscnt 0x0
	s_barrier_signal -1
	s_barrier_wait -1
	v_fma_f64 v[63:64], v[63:64], -0.5, v[61:62]
	v_fma_f64 v[65:66], v[65:66], -0.5, v[61:62]
	v_add_f64_e32 v[61:62], v[61:62], v[151:152]
	global_inv scope:SCOPE_SE
	v_add_f64_e32 v[194:195], v[33:34], v[67:68]
	v_add_f64_e32 v[202:203], v[35:36], v[49:50]
	v_add_f64_e64 v[210:211], v[49:50], -v[45:46]
	v_add_f64_e32 v[165:166], v[51:52], v[47:48]
	v_add_f64_e32 v[167:168], v[67:68], v[149:150]
	;; [unrolled: 1-line block ×4, first 2 shown]
	v_fma_f64 v[153:154], v[153:154], -0.5, v[39:40]
	v_fma_f64 v[43:44], v[43:44], -0.5, v[39:40]
	v_add_f64_e32 v[39:40], v[39:40], v[53:54]
	v_add_f64_e64 v[198:199], v[49:50], -v[37:38]
	v_add_f64_e64 v[200:201], v[45:46], -v[41:42]
	;; [unrolled: 1-line block ×6, first 2 shown]
	v_fma_f64 v[185:186], v[157:158], s[0:1], v[63:64]
	v_fma_f64 v[187:188], v[161:162], s[8:9], v[65:66]
	;; [unrolled: 1-line block ×4, first 2 shown]
	v_add_f64_e32 v[61:62], v[61:62], v[155:156]
	v_add_f64_e32 v[45:46], v[202:203], v[45:46]
	v_fma_f64 v[151:152], v[165:166], -0.5, v[33:34]
	v_add_f64_e64 v[165:166], v[67:68], -v[149:150]
	v_fma_f64 v[33:34], v[167:168], -0.5, v[33:34]
	v_add_f64_e64 v[167:168], v[51:52], -v[47:48]
	v_fma_f64 v[169:170], v[169:170], -0.5, v[35:36]
	v_fma_f64 v[35:36], v[171:172], -0.5, v[35:36]
	v_add_f64_e32 v[171:172], v[175:176], v[177:178]
	v_add_f64_e32 v[175:176], v[179:180], v[181:182]
	v_fma_f64 v[177:178], v[173:174], s[8:9], v[43:44]
	v_fma_f64 v[43:44], v[173:174], s[0:1], v[43:44]
	;; [unrolled: 1-line block ×4, first 2 shown]
	v_add_f64_e32 v[39:40], v[39:40], v[55:56]
	v_add_f64_e32 v[55:56], v[204:205], v[206:207]
	;; [unrolled: 1-line block ×4, first 2 shown]
	v_fma_f64 v[181:182], v[161:162], s[2:3], v[185:186]
	v_fma_f64 v[185:186], v[157:158], s[2:3], v[187:188]
	;; [unrolled: 1-line block ×4, first 2 shown]
	v_add_f64_e64 v[157:158], v[67:68], -v[51:52]
	v_add_f64_e64 v[67:68], v[51:52], -v[67:68]
	v_add_f64_e32 v[51:52], v[194:195], v[51:52]
	v_add_f64_e64 v[161:162], v[149:150], -v[47:48]
	v_add_f64_e64 v[187:188], v[47:48], -v[149:150]
	v_add_f64_e32 v[41:42], v[45:46], v[41:42]
	v_add_f64_e32 v[45:46], v[61:62], v[159:160]
	v_fma_f64 v[155:156], v[198:199], s[8:9], v[151:152]
	v_fma_f64 v[151:152], v[198:199], s[0:1], v[151:152]
	;; [unrolled: 1-line block ×12, first 2 shown]
	v_add_f64_e32 v[39:40], v[39:40], v[57:58]
	v_fma_f64 v[173:174], v[171:172], s[12:13], v[181:182]
	v_fma_f64 v[181:182], v[175:176], s[12:13], v[185:186]
	;; [unrolled: 1-line block ×4, first 2 shown]
	v_add_f64_e32 v[47:48], v[51:52], v[47:48]
	v_add_f64_e32 v[157:158], v[157:158], v[161:162]
	;; [unrolled: 1-line block ×5, first 2 shown]
	v_fma_f64 v[51:52], v[200:201], s[14:15], v[155:156]
	v_fma_f64 v[57:58], v[200:201], s[2:3], v[151:152]
	;; [unrolled: 1-line block ×12, first 2 shown]
	v_add_f64_e32 v[39:40], v[39:40], v[59:60]
	v_add_f64_e32 v[59:60], v[45:46], v[163:164]
	v_mul_f64_e32 v[153:154], s[14:15], v[173:174]
	v_mul_f64_e32 v[173:174], s[16:17], v[173:174]
	;; [unrolled: 1-line block ×6, first 2 shown]
	s_wait_alu 0xfffe
	v_mul_f64_e32 v[65:66], s[18:19], v[65:66]
	v_mul_f64_e32 v[63:64], s[20:21], v[63:64]
	v_add_f64_e32 v[47:48], v[47:48], v[149:150]
	v_fma_f64 v[149:150], v[157:158], s[12:13], v[51:52]
	v_fma_f64 v[157:158], v[157:158], s[12:13], v[57:58]
	;; [unrolled: 1-line block ×16, first 2 shown]
	v_add_f64_e32 v[41:42], v[47:48], v[39:40]
	v_add_f64_e32 v[43:44], v[37:38], v[59:60]
	v_add_f64_e64 v[45:46], v[47:48], -v[39:40]
	v_add_f64_e64 v[47:48], v[37:38], -v[59:60]
	v_add_f64_e32 v[49:50], v[149:150], v[153:154]
	v_add_f64_e32 v[51:52], v[67:68], v[165:166]
	;; [unrolled: 1-line block ×8, first 2 shown]
	v_add_f64_e64 v[65:66], v[149:150], -v[153:154]
	v_add_f64_e64 v[67:68], v[67:68], -v[165:166]
	v_add_f64_e64 v[149:150], v[163:164], -v[159:160]
	v_add_f64_e64 v[151:152], v[151:152], -v[169:170]
	v_add_f64_e64 v[33:34], v[33:34], -v[161:162]
	v_add_f64_e64 v[35:36], v[35:36], -v[171:172]
	v_add_f64_e64 v[37:38], v[157:158], -v[167:168]
	v_add_f64_e64 v[39:40], v[155:156], -v[173:174]
	ds_store_b128 v197, v[41:44]
	ds_store_b128 v197, v[49:52] offset:128
	ds_store_b128 v197, v[53:56] offset:256
	;; [unrolled: 1-line block ×9, first 2 shown]
	global_wb scope:SCOPE_SE
	s_wait_dscnt 0x0
	s_barrier_signal -1
	s_barrier_wait -1
	global_inv scope:SCOPE_SE
	ds_load_b128 v[41:44], v0
	ds_load_b128 v[149:152], v192 offset:1280
	ds_load_b128 v[57:60], v192 offset:2560
	;; [unrolled: 1-line block ×7, first 2 shown]
	s_and_saveexec_b32 s0, vcc_lo
	s_cbranch_execz .LBB0_19
; %bb.18:
	ds_load_b128 v[33:36], v192 offset:1024
	ds_load_b128 v[37:40], v192 offset:2304
	;; [unrolled: 1-line block ×8, first 2 shown]
.LBB0_19:
	s_wait_alu 0xfffe
	s_or_b32 exec_lo, exec_lo, s0
	s_wait_dscnt 0x6
	v_mul_f64_e32 v[153:154], v[99:100], v[151:152]
	v_mul_f64_e32 v[99:100], v[99:100], v[149:150]
	s_wait_dscnt 0x5
	v_mul_f64_e32 v[155:156], v[103:104], v[59:60]
	v_mul_f64_e32 v[103:104], v[103:104], v[57:58]
	;; [unrolled: 3-line block ×4, first 2 shown]
	v_mul_f64_e32 v[161:162], v[119:120], v[55:56]
	v_mul_f64_e32 v[119:120], v[119:120], v[53:54]
	;; [unrolled: 1-line block ×4, first 2 shown]
	s_wait_dscnt 0x0
	v_mul_f64_e32 v[165:166], v[123:124], v[51:52]
	v_mul_f64_e32 v[123:124], v[123:124], v[49:50]
	s_mov_b32 s0, 0x667f3bcd
	s_mov_b32 s1, 0xbfe6a09e
	;; [unrolled: 1-line block ×3, first 2 shown]
	s_wait_alu 0xfffe
	s_mov_b32 s2, s0
	v_fma_f64 v[149:150], v[97:98], v[149:150], v[153:154]
	v_fma_f64 v[97:98], v[97:98], v[151:152], -v[99:100]
	v_fma_f64 v[57:58], v[101:102], v[57:58], v[155:156]
	v_fma_f64 v[59:60], v[101:102], v[59:60], -v[103:104]
	;; [unrolled: 2-line block ×7, first 2 shown]
	v_add_f64_e64 v[61:62], v[41:42], -v[61:62]
	v_add_f64_e64 v[63:64], v[43:44], -v[63:64]
	;; [unrolled: 1-line block ×8, first 2 shown]
	v_fma_f64 v[41:42], v[41:42], 2.0, -v[61:62]
	v_fma_f64 v[43:44], v[43:44], 2.0, -v[63:64]
	;; [unrolled: 1-line block ×6, first 2 shown]
	v_add_f64_e32 v[101:102], v[61:62], v[67:68]
	v_add_f64_e64 v[103:104], v[63:64], -v[65:66]
	v_fma_f64 v[45:46], v[45:46], 2.0, -v[49:50]
	v_fma_f64 v[47:48], v[47:48], 2.0, -v[51:52]
	v_add_f64_e32 v[65:66], v[53:54], v[51:52]
	v_add_f64_e64 v[67:68], v[55:56], -v[49:50]
	v_add_f64_e64 v[57:58], v[41:42], -v[57:58]
	;; [unrolled: 1-line block ×3, first 2 shown]
	v_fma_f64 v[105:106], v[61:62], 2.0, -v[101:102]
	v_fma_f64 v[107:108], v[63:64], 2.0, -v[103:104]
	v_add_f64_e64 v[45:46], v[99:100], -v[45:46]
	v_add_f64_e64 v[47:48], v[97:98], -v[47:48]
	v_fma_f64 v[51:52], v[53:54], 2.0, -v[65:66]
	v_fma_f64 v[49:50], v[55:56], 2.0, -v[67:68]
	s_wait_alu 0xfffe
	v_fma_f64 v[109:110], v[65:66], s[2:3], v[101:102]
	v_fma_f64 v[111:112], v[67:68], s[2:3], v[103:104]
	v_fma_f64 v[61:62], v[41:42], 2.0, -v[57:58]
	v_fma_f64 v[63:64], v[43:44], 2.0, -v[59:60]
	;; [unrolled: 1-line block ×4, first 2 shown]
	v_fma_f64 v[97:98], v[51:52], s[0:1], v[105:106]
	v_fma_f64 v[99:100], v[49:50], s[0:1], v[107:108]
	v_add_f64_e32 v[41:42], v[57:58], v[47:48]
	v_add_f64_e64 v[43:44], v[59:60], -v[45:46]
	v_add_f64_e64 v[45:46], v[61:62], -v[53:54]
	;; [unrolled: 1-line block ×3, first 2 shown]
	v_fma_f64 v[49:50], v[49:50], s[2:3], v[97:98]
	v_fma_f64 v[51:52], v[51:52], s[0:1], v[99:100]
	;; [unrolled: 1-line block ×4, first 2 shown]
	v_fma_f64 v[57:58], v[57:58], 2.0, -v[41:42]
	v_fma_f64 v[59:60], v[59:60], 2.0, -v[43:44]
	;; [unrolled: 1-line block ×8, first 2 shown]
	ds_store_b128 v0, v[61:64]
	ds_store_b128 v192, v[65:68] offset:1280
	ds_store_b128 v192, v[57:60] offset:2560
	;; [unrolled: 1-line block ×7, first 2 shown]
	s_and_saveexec_b32 s8, vcc_lo
	s_cbranch_execz .LBB0_21
; %bb.20:
	v_mul_f64_e32 v[41:42], v[83:84], v[133:134]
	v_mul_f64_e32 v[43:44], v[75:76], v[127:128]
	;; [unrolled: 1-line block ×14, first 2 shown]
	v_fma_f64 v[41:42], v[81:82], v[135:136], -v[41:42]
	v_fma_f64 v[43:44], v[73:74], v[125:126], v[43:44]
	v_fma_f64 v[45:46], v[89:90], v[137:138], v[45:46]
	v_fma_f64 v[39:40], v[69:70], v[39:40], -v[47:48]
	v_fma_f64 v[47:48], v[85:86], v[143:144], -v[49:50]
	v_fma_f64 v[49:50], v[77:78], v[129:130], v[51:52]
	v_fma_f64 v[51:52], v[93:94], v[145:146], v[53:54]
	;; [unrolled: 1-line block ×3, first 2 shown]
	v_fma_f64 v[53:54], v[73:74], v[127:128], -v[57:58]
	v_fma_f64 v[55:56], v[89:90], v[139:140], -v[59:60]
	v_fma_f64 v[57:58], v[85:86], v[141:142], v[61:62]
	v_fma_f64 v[59:60], v[81:82], v[133:134], v[63:64]
	v_fma_f64 v[61:62], v[77:78], v[131:132], -v[65:66]
	v_fma_f64 v[63:64], v[93:94], v[147:148], -v[67:68]
	v_add_f64_e64 v[41:42], v[35:36], -v[41:42]
	v_add_f64_e64 v[45:46], v[43:44], -v[45:46]
	;; [unrolled: 1-line block ×8, first 2 shown]
	v_fma_f64 v[35:36], v[35:36], 2.0, -v[41:42]
	v_add_f64_e64 v[65:66], v[41:42], -v[45:46]
	v_fma_f64 v[43:44], v[43:44], 2.0, -v[45:46]
	v_fma_f64 v[39:40], v[39:40], 2.0, -v[47:48]
	v_add_f64_e64 v[67:68], v[47:48], -v[51:52]
	v_fma_f64 v[49:50], v[49:50], 2.0, -v[51:52]
	v_fma_f64 v[53:54], v[53:54], 2.0, -v[55:56]
	;; [unrolled: 1-line block ×5, first 2 shown]
	v_add_f64_e32 v[45:46], v[63:64], v[57:58]
	v_add_f64_e32 v[61:62], v[55:56], v[59:60]
	v_fma_f64 v[63:64], v[41:42], 2.0, -v[65:66]
	v_fma_f64 v[41:42], v[47:48], 2.0, -v[67:68]
	v_add_f64_e64 v[53:54], v[35:36], -v[53:54]
	v_add_f64_e64 v[47:48], v[37:38], -v[49:50]
	;; [unrolled: 1-line block ×4, first 2 shown]
	v_fma_f64 v[43:44], v[57:58], 2.0, -v[45:46]
	v_fma_f64 v[57:58], v[59:60], 2.0, -v[61:62]
	v_fma_f64 v[51:52], v[67:68], s[2:3], v[65:66]
	v_fma_f64 v[55:56], v[45:46], s[2:3], v[61:62]
	v_fma_f64 v[59:60], v[41:42], s[0:1], v[63:64]
	v_fma_f64 v[71:72], v[35:36], 2.0, -v[53:54]
	v_fma_f64 v[77:78], v[37:38], 2.0, -v[47:48]
	;; [unrolled: 1-line block ×4, first 2 shown]
	v_add_f64_e64 v[39:40], v[53:54], -v[47:48]
	v_fma_f64 v[79:80], v[43:44], s[0:1], v[57:58]
	v_add_f64_e32 v[37:38], v[69:70], v[49:50]
	v_fma_f64 v[35:36], v[45:46], s[0:1], v[51:52]
	v_fma_f64 v[33:34], v[67:68], s[2:3], v[55:56]
	;; [unrolled: 1-line block ×3, first 2 shown]
	v_add_f64_e64 v[45:46], v[75:76], -v[77:78]
	v_add_f64_e64 v[47:48], v[71:72], -v[73:74]
	v_fma_f64 v[55:56], v[53:54], 2.0, -v[39:40]
	v_fma_f64 v[41:42], v[41:42], s[2:3], v[79:80]
	v_fma_f64 v[53:54], v[69:70], 2.0, -v[37:38]
	v_fma_f64 v[51:52], v[65:66], 2.0, -v[35:36]
	;; [unrolled: 1-line block ×7, first 2 shown]
	ds_store_b128 v192, v[53:56] offset:3584
	ds_store_b128 v192, v[49:52] offset:4864
	;; [unrolled: 1-line block ×8, first 2 shown]
.LBB0_21:
	s_wait_alu 0xfffe
	s_or_b32 exec_lo, exec_lo, s8
	global_wb scope:SCOPE_SE
	s_wait_dscnt 0x0
	s_barrier_signal -1
	s_barrier_wait -1
	global_inv scope:SCOPE_SE
	ds_load_b128 v[33:36], v0
	ds_load_b128 v[37:40], v192 offset:1280
	ds_load_b128 v[41:44], v192 offset:2560
	;; [unrolled: 1-line block ×7, first 2 shown]
	v_mad_co_u64_u32 v[81:82], null, s6, v191, 0
	v_mad_co_u64_u32 v[83:84], null, s4, v193, 0
	s_mov_b32 s2, 0x9999999a
	s_mov_b32 s3, 0x3f599999
	s_delay_alu instid0(VALU_DEP_2) | instskip(NEXT) | instid1(VALU_DEP_2)
	v_mov_b32_e32 v0, v82
	v_mov_b32_e32 v82, v84
	s_wait_dscnt 0x7
	v_mul_f64_e32 v[65:66], v[3:4], v[35:36]
	v_mul_f64_e32 v[3:4], v[3:4], v[33:34]
	s_wait_dscnt 0x6
	v_mul_f64_e32 v[67:68], v[7:8], v[39:40]
	v_mul_f64_e32 v[7:8], v[7:8], v[37:38]
	;; [unrolled: 3-line block ×8, first 2 shown]
	v_mad_co_u64_u32 v[84:85], null, s7, v191, v[0:1]
	v_mad_co_u64_u32 v[85:86], null, s5, v193, v[82:83]
	s_mul_u64 s[6:7], s[4:5], 0x50
	s_wait_alu 0xfffe
	s_lshl_b64 s[6:7], s[6:7], 4
	s_delay_alu instid0(VALU_DEP_2) | instskip(NEXT) | instid1(VALU_DEP_2)
	v_mov_b32_e32 v82, v84
	v_mov_b32_e32 v84, v85
	v_fma_f64 v[33:34], v[1:2], v[33:34], v[65:66]
	v_fma_f64 v[0:1], v[1:2], v[35:36], -v[3:4]
	v_fma_f64 v[35:36], v[5:6], v[37:38], v[67:68]
	v_fma_f64 v[37:38], v[5:6], v[39:40], -v[7:8]
	;; [unrolled: 2-line block ×8, first 2 shown]
	v_lshlrev_b64_e32 v[2:3], 4, v[81:82]
	v_lshlrev_b64_e32 v[4:5], 4, v[83:84]
	s_delay_alu instid0(VALU_DEP_2) | instskip(SKIP_1) | instid1(VALU_DEP_3)
	v_add_co_u32 v2, s0, s10, v2
	s_wait_alu 0xf1ff
	v_add_co_ci_u32_e64 v3, s0, s11, v3, s0
	s_delay_alu instid0(VALU_DEP_2) | instskip(SKIP_1) | instid1(VALU_DEP_2)
	v_add_co_u32 v63, s0, v2, v4
	s_wait_alu 0xf1ff
	v_add_co_ci_u32_e64 v64, s0, v3, v5, s0
	v_mul_f64_e32 v[2:3], s[2:3], v[33:34]
	v_mul_f64_e32 v[4:5], s[2:3], v[0:1]
	;; [unrolled: 1-line block ×4, first 2 shown]
	s_wait_alu 0xfffe
	v_add_co_u32 v34, s0, v63, s6
	v_mul_f64_e32 v[10:11], s[2:3], v[39:40]
	v_mul_f64_e32 v[12:13], s[2:3], v[41:42]
	;; [unrolled: 1-line block ×4, first 2 shown]
	s_wait_alu 0xf1ff
	v_add_co_ci_u32_e64 v35, s0, s7, v64, s0
	v_mul_f64_e32 v[18:19], s[2:3], v[47:48]
	v_mul_f64_e32 v[20:21], s[2:3], v[49:50]
	;; [unrolled: 1-line block ×6, first 2 shown]
	v_add_co_u32 v36, s0, v34, s6
	v_mul_f64_e32 v[30:31], s[2:3], v[59:60]
	v_mul_f64_e32 v[32:33], s[2:3], v[61:62]
	s_wait_alu 0xf1ff
	v_add_co_ci_u32_e64 v37, s0, s7, v35, s0
	v_add_co_u32 v38, s0, v36, s6
	s_wait_alu 0xf1ff
	s_delay_alu instid0(VALU_DEP_2) | instskip(NEXT) | instid1(VALU_DEP_2)
	v_add_co_ci_u32_e64 v39, s0, s7, v37, s0
	v_add_co_u32 v40, s0, v38, s6
	s_wait_alu 0xf1ff
	s_delay_alu instid0(VALU_DEP_2) | instskip(NEXT) | instid1(VALU_DEP_2)
	;; [unrolled: 4-line block ×4, first 2 shown]
	v_add_co_ci_u32_e64 v45, s0, s7, v43, s0
	v_add_co_u32 v0, s0, v44, s6
	s_wait_alu 0xf1ff
	s_delay_alu instid0(VALU_DEP_2)
	v_add_co_ci_u32_e64 v1, s0, s7, v45, s0
	s_clause 0x4
	global_store_b128 v[63:64], v[2:5], off
	global_store_b128 v[34:35], v[6:9], off
	;; [unrolled: 1-line block ×8, first 2 shown]
	s_and_b32 exec_lo, exec_lo, vcc_lo
	s_cbranch_execz .LBB0_23
; %bb.22:
	s_clause 0x3
	global_load_b128 v[2:5], v[189:190], off offset:1024
	global_load_b128 v[6:9], v[189:190], off offset:2304
	;; [unrolled: 1-line block ×4, first 2 shown]
	ds_load_b128 v[18:21], v192 offset:1024
	ds_load_b128 v[22:25], v192 offset:2304
	ds_load_b128 v[26:29], v192 offset:3584
	ds_load_b128 v[30:33], v192 offset:4864
	v_mad_co_u64_u32 v[0:1], null, 0xffffe100, s4, v[0:1]
	s_mul_i32 s0, s5, 0xffffe100
	s_wait_alu 0xfffe
	s_sub_co_i32 s0, s0, s4
	s_wait_alu 0xfffe
	s_delay_alu instid0(VALU_DEP_1)
	v_add_nc_u32_e32 v1, s0, v1
	s_wait_loadcnt_dscnt 0x303
	v_mul_f64_e32 v[34:35], v[20:21], v[4:5]
	v_mul_f64_e32 v[4:5], v[18:19], v[4:5]
	s_wait_loadcnt_dscnt 0x202
	v_mul_f64_e32 v[36:37], v[24:25], v[8:9]
	v_mul_f64_e32 v[8:9], v[22:23], v[8:9]
	;; [unrolled: 3-line block ×4, first 2 shown]
	v_fma_f64 v[18:19], v[18:19], v[2:3], v[34:35]
	v_fma_f64 v[4:5], v[2:3], v[20:21], -v[4:5]
	v_fma_f64 v[20:21], v[22:23], v[6:7], v[36:37]
	v_fma_f64 v[8:9], v[6:7], v[24:25], -v[8:9]
	;; [unrolled: 2-line block ×4, first 2 shown]
	v_mul_f64_e32 v[2:3], s[2:3], v[18:19]
	v_mul_f64_e32 v[4:5], s[2:3], v[4:5]
	;; [unrolled: 1-line block ×8, first 2 shown]
	v_add_co_u32 v18, vcc_lo, v0, s6
	s_wait_alu 0xfffd
	v_add_co_ci_u32_e32 v19, vcc_lo, s7, v1, vcc_lo
	s_delay_alu instid0(VALU_DEP_2) | instskip(SKIP_1) | instid1(VALU_DEP_2)
	v_add_co_u32 v20, vcc_lo, v18, s6
	s_wait_alu 0xfffd
	v_add_co_ci_u32_e32 v21, vcc_lo, s7, v19, vcc_lo
	s_delay_alu instid0(VALU_DEP_2) | instskip(SKIP_1) | instid1(VALU_DEP_2)
	v_add_co_u32 v22, vcc_lo, v20, s6
	s_wait_alu 0xfffd
	v_add_co_ci_u32_e32 v23, vcc_lo, s7, v21, vcc_lo
	global_store_b128 v[0:1], v[2:5], off
	global_store_b128 v[18:19], v[6:9], off
	;; [unrolled: 1-line block ×4, first 2 shown]
	global_load_b128 v[0:3], v[189:190], off offset:6144
	ds_load_b128 v[4:7], v192 offset:6144
	ds_load_b128 v[8:11], v192 offset:7424
	s_wait_loadcnt_dscnt 0x1
	v_mul_f64_e32 v[12:13], v[6:7], v[2:3]
	v_mul_f64_e32 v[2:3], v[4:5], v[2:3]
	s_delay_alu instid0(VALU_DEP_2) | instskip(NEXT) | instid1(VALU_DEP_2)
	v_fma_f64 v[4:5], v[4:5], v[0:1], v[12:13]
	v_fma_f64 v[2:3], v[0:1], v[6:7], -v[2:3]
	s_delay_alu instid0(VALU_DEP_2) | instskip(NEXT) | instid1(VALU_DEP_2)
	v_mul_f64_e32 v[0:1], s[2:3], v[4:5]
	v_mul_f64_e32 v[2:3], s[2:3], v[2:3]
	v_add_co_u32 v4, vcc_lo, v22, s6
	s_wait_alu 0xfffd
	v_add_co_ci_u32_e32 v5, vcc_lo, s7, v23, vcc_lo
	s_delay_alu instid0(VALU_DEP_2) | instskip(SKIP_1) | instid1(VALU_DEP_2)
	v_add_co_u32 v12, vcc_lo, v4, s6
	s_wait_alu 0xfffd
	v_add_co_ci_u32_e32 v13, vcc_lo, s7, v5, vcc_lo
	global_store_b128 v[4:5], v[0:3], off
	global_load_b128 v[0:3], v[189:190], off offset:7424
	s_wait_loadcnt_dscnt 0x0
	v_mul_f64_e32 v[6:7], v[10:11], v[2:3]
	v_mul_f64_e32 v[2:3], v[8:9], v[2:3]
	s_delay_alu instid0(VALU_DEP_2) | instskip(NEXT) | instid1(VALU_DEP_2)
	v_fma_f64 v[6:7], v[8:9], v[0:1], v[6:7]
	v_fma_f64 v[2:3], v[0:1], v[10:11], -v[2:3]
	s_delay_alu instid0(VALU_DEP_2) | instskip(NEXT) | instid1(VALU_DEP_2)
	v_mul_f64_e32 v[0:1], s[2:3], v[6:7]
	v_mul_f64_e32 v[2:3], s[2:3], v[2:3]
	global_store_b128 v[12:13], v[0:3], off
	global_load_b128 v[0:3], v[189:190], off offset:8704
	ds_load_b128 v[4:7], v192 offset:8704
	ds_load_b128 v[8:11], v192 offset:9984
	s_wait_loadcnt_dscnt 0x1
	v_mul_f64_e32 v[14:15], v[6:7], v[2:3]
	v_mul_f64_e32 v[2:3], v[4:5], v[2:3]
	s_delay_alu instid0(VALU_DEP_2) | instskip(NEXT) | instid1(VALU_DEP_2)
	v_fma_f64 v[4:5], v[4:5], v[0:1], v[14:15]
	v_fma_f64 v[2:3], v[0:1], v[6:7], -v[2:3]
	s_delay_alu instid0(VALU_DEP_2) | instskip(NEXT) | instid1(VALU_DEP_2)
	v_mul_f64_e32 v[0:1], s[2:3], v[4:5]
	v_mul_f64_e32 v[2:3], s[2:3], v[2:3]
	v_add_co_u32 v4, vcc_lo, v12, s6
	s_wait_alu 0xfffd
	v_add_co_ci_u32_e32 v5, vcc_lo, s7, v13, vcc_lo
	global_store_b128 v[4:5], v[0:3], off
	global_load_b128 v[0:3], v[189:190], off offset:9984
	v_add_co_u32 v4, vcc_lo, v4, s6
	s_wait_alu 0xfffd
	v_add_co_ci_u32_e32 v5, vcc_lo, s7, v5, vcc_lo
	s_wait_loadcnt_dscnt 0x0
	v_mul_f64_e32 v[6:7], v[10:11], v[2:3]
	v_mul_f64_e32 v[2:3], v[8:9], v[2:3]
	s_delay_alu instid0(VALU_DEP_2) | instskip(NEXT) | instid1(VALU_DEP_2)
	v_fma_f64 v[6:7], v[8:9], v[0:1], v[6:7]
	v_fma_f64 v[2:3], v[0:1], v[10:11], -v[2:3]
	s_delay_alu instid0(VALU_DEP_2) | instskip(NEXT) | instid1(VALU_DEP_2)
	v_mul_f64_e32 v[0:1], s[2:3], v[6:7]
	v_mul_f64_e32 v[2:3], s[2:3], v[2:3]
	global_store_b128 v[4:5], v[0:3], off
.LBB0_23:
	s_nop 0
	s_sendmsg sendmsg(MSG_DEALLOC_VGPRS)
	s_endpgm
	.section	.rodata,"a",@progbits
	.p2align	6, 0x0
	.amdhsa_kernel bluestein_single_fwd_len640_dim1_dp_op_CI_CI
		.amdhsa_group_segment_fixed_size 20480
		.amdhsa_private_segment_fixed_size 0
		.amdhsa_kernarg_size 104
		.amdhsa_user_sgpr_count 2
		.amdhsa_user_sgpr_dispatch_ptr 0
		.amdhsa_user_sgpr_queue_ptr 0
		.amdhsa_user_sgpr_kernarg_segment_ptr 1
		.amdhsa_user_sgpr_dispatch_id 0
		.amdhsa_user_sgpr_private_segment_size 0
		.amdhsa_wavefront_size32 1
		.amdhsa_uses_dynamic_stack 0
		.amdhsa_enable_private_segment 0
		.amdhsa_system_sgpr_workgroup_id_x 1
		.amdhsa_system_sgpr_workgroup_id_y 0
		.amdhsa_system_sgpr_workgroup_id_z 0
		.amdhsa_system_sgpr_workgroup_info 0
		.amdhsa_system_vgpr_workitem_id 0
		.amdhsa_next_free_vgpr 246
		.amdhsa_next_free_sgpr 22
		.amdhsa_reserve_vcc 1
		.amdhsa_float_round_mode_32 0
		.amdhsa_float_round_mode_16_64 0
		.amdhsa_float_denorm_mode_32 3
		.amdhsa_float_denorm_mode_16_64 3
		.amdhsa_fp16_overflow 0
		.amdhsa_workgroup_processor_mode 1
		.amdhsa_memory_ordered 1
		.amdhsa_forward_progress 0
		.amdhsa_round_robin_scheduling 0
		.amdhsa_exception_fp_ieee_invalid_op 0
		.amdhsa_exception_fp_denorm_src 0
		.amdhsa_exception_fp_ieee_div_zero 0
		.amdhsa_exception_fp_ieee_overflow 0
		.amdhsa_exception_fp_ieee_underflow 0
		.amdhsa_exception_fp_ieee_inexact 0
		.amdhsa_exception_int_div_zero 0
	.end_amdhsa_kernel
	.text
.Lfunc_end0:
	.size	bluestein_single_fwd_len640_dim1_dp_op_CI_CI, .Lfunc_end0-bluestein_single_fwd_len640_dim1_dp_op_CI_CI
                                        ; -- End function
	.section	.AMDGPU.csdata,"",@progbits
; Kernel info:
; codeLenInByte = 13412
; NumSgprs: 24
; NumVgprs: 246
; ScratchSize: 0
; MemoryBound: 0
; FloatMode: 240
; IeeeMode: 1
; LDSByteSize: 20480 bytes/workgroup (compile time only)
; SGPRBlocks: 2
; VGPRBlocks: 30
; NumSGPRsForWavesPerEU: 24
; NumVGPRsForWavesPerEU: 246
; Occupancy: 5
; WaveLimiterHint : 1
; COMPUTE_PGM_RSRC2:SCRATCH_EN: 0
; COMPUTE_PGM_RSRC2:USER_SGPR: 2
; COMPUTE_PGM_RSRC2:TRAP_HANDLER: 0
; COMPUTE_PGM_RSRC2:TGID_X_EN: 1
; COMPUTE_PGM_RSRC2:TGID_Y_EN: 0
; COMPUTE_PGM_RSRC2:TGID_Z_EN: 0
; COMPUTE_PGM_RSRC2:TIDIG_COMP_CNT: 0
	.text
	.p2alignl 7, 3214868480
	.fill 96, 4, 3214868480
	.type	__hip_cuid_3bcd8636b52abf1c,@object ; @__hip_cuid_3bcd8636b52abf1c
	.section	.bss,"aw",@nobits
	.globl	__hip_cuid_3bcd8636b52abf1c
__hip_cuid_3bcd8636b52abf1c:
	.byte	0                               ; 0x0
	.size	__hip_cuid_3bcd8636b52abf1c, 1

	.ident	"AMD clang version 19.0.0git (https://github.com/RadeonOpenCompute/llvm-project roc-6.4.0 25133 c7fe45cf4b819c5991fe208aaa96edf142730f1d)"
	.section	".note.GNU-stack","",@progbits
	.addrsig
	.addrsig_sym __hip_cuid_3bcd8636b52abf1c
	.amdgpu_metadata
---
amdhsa.kernels:
  - .args:
      - .actual_access:  read_only
        .address_space:  global
        .offset:         0
        .size:           8
        .value_kind:     global_buffer
      - .actual_access:  read_only
        .address_space:  global
        .offset:         8
        .size:           8
        .value_kind:     global_buffer
      - .actual_access:  read_only
        .address_space:  global
        .offset:         16
        .size:           8
        .value_kind:     global_buffer
      - .actual_access:  read_only
        .address_space:  global
        .offset:         24
        .size:           8
        .value_kind:     global_buffer
      - .actual_access:  read_only
        .address_space:  global
        .offset:         32
        .size:           8
        .value_kind:     global_buffer
      - .offset:         40
        .size:           8
        .value_kind:     by_value
      - .address_space:  global
        .offset:         48
        .size:           8
        .value_kind:     global_buffer
      - .address_space:  global
        .offset:         56
        .size:           8
        .value_kind:     global_buffer
      - .address_space:  global
        .offset:         64
        .size:           8
        .value_kind:     global_buffer
      - .address_space:  global
        .offset:         72
        .size:           8
        .value_kind:     global_buffer
      - .offset:         80
        .size:           4
        .value_kind:     by_value
      - .address_space:  global
        .offset:         88
        .size:           8
        .value_kind:     global_buffer
      - .address_space:  global
        .offset:         96
        .size:           8
        .value_kind:     global_buffer
    .group_segment_fixed_size: 20480
    .kernarg_segment_align: 8
    .kernarg_segment_size: 104
    .language:       OpenCL C
    .language_version:
      - 2
      - 0
    .max_flat_workgroup_size: 128
    .name:           bluestein_single_fwd_len640_dim1_dp_op_CI_CI
    .private_segment_fixed_size: 0
    .sgpr_count:     24
    .sgpr_spill_count: 0
    .symbol:         bluestein_single_fwd_len640_dim1_dp_op_CI_CI.kd
    .uniform_work_group_size: 1
    .uses_dynamic_stack: false
    .vgpr_count:     246
    .vgpr_spill_count: 0
    .wavefront_size: 32
    .workgroup_processor_mode: 1
amdhsa.target:   amdgcn-amd-amdhsa--gfx1201
amdhsa.version:
  - 1
  - 2
...

	.end_amdgpu_metadata
